;; amdgpu-corpus repo=vllm-project/vllm kind=compiled arch=gfx90a opt=O3
	.text
	.amdgcn_target "amdgcn-amd-amdhsa--gfx90a"
	.amdhsa_code_object_version 6
	.section	.text._ZN4vllm21deepseek_v4_fused_ops47fusedDeepseekV4QNormRopeKVRopeQuantInsertKernelIN3c104HalfELi8EEEvPKT_PS4_S6_PhPKlSA_PKffiiiii,"axG",@progbits,_ZN4vllm21deepseek_v4_fused_ops47fusedDeepseekV4QNormRopeKVRopeQuantInsertKernelIN3c104HalfELi8EEEvPKT_PS4_S6_PhPKlSA_PKffiiiii,comdat
	.protected	_ZN4vllm21deepseek_v4_fused_ops47fusedDeepseekV4QNormRopeKVRopeQuantInsertKernelIN3c104HalfELi8EEEvPKT_PS4_S6_PhPKlSA_PKffiiiii ; -- Begin function _ZN4vllm21deepseek_v4_fused_ops47fusedDeepseekV4QNormRopeKVRopeQuantInsertKernelIN3c104HalfELi8EEEvPKT_PS4_S6_PhPKlSA_PKffiiiii
	.globl	_ZN4vllm21deepseek_v4_fused_ops47fusedDeepseekV4QNormRopeKVRopeQuantInsertKernelIN3c104HalfELi8EEEvPKT_PS4_S6_PhPKlSA_PKffiiiii
	.p2align	8
	.type	_ZN4vllm21deepseek_v4_fused_ops47fusedDeepseekV4QNormRopeKVRopeQuantInsertKernelIN3c104HalfELi8EEEvPKT_PS4_S6_PhPKlSA_PKffiiiii,@function
_ZN4vllm21deepseek_v4_fused_ops47fusedDeepseekV4QNormRopeKVRopeQuantInsertKernelIN3c104HalfELi8EEEvPKT_PS4_S6_PhPKlSA_PKffiiiii: ; @_ZN4vllm21deepseek_v4_fused_ops47fusedDeepseekV4QNormRopeKVRopeQuantInsertKernelIN3c104HalfELi8EEEvPKT_PS4_S6_PhPKlSA_PKffiiiii
; %bb.0:
	s_load_dword s0, s[4:5], 0x5c
	s_load_dwordx4 s[16:19], s[4:5], 0x38
	v_lshrrev_b32_e32 v1, 5, v0
	s_waitcnt lgkmcnt(0)
	s_bfe_u32 s0, s0, 0xb0005
	s_mul_i32 s6, s6, s0
	v_add_u32_e32 v1, s6, v1
	s_mov_b32 s0, 0x38e38e39
	v_mul_hi_i32 v2, v1, s0
	v_lshrrev_b32_e32 v3, 31, v2
	v_ashrrev_i32_e32 v2, 1, v2
	v_add_u32_e32 v34, v2, v3
	v_cmp_gt_i32_e32 vcc, s17, v34
	s_and_saveexec_b64 s[0:1], vcc
	s_cbranch_execz .LBB0_10
; %bb.1:
	s_load_dwordx2 s[20:21], s[4:5], 0x48
	v_lshl_add_u32 v2, v34, 3, v34
	v_sub_u32_e32 v36, v1, v2
	v_cmp_ne_u32_e64 s[0:1], 8, v36
	v_cmp_gt_i32_e64 s[2:3], s18, v34
	v_cmp_eq_u32_e32 vcc, 8, v36
	s_or_b64 s[2:3], s[0:1], s[2:3]
	s_and_b64 exec, exec, s[2:3]
	s_cbranch_execz .LBB0_10
; %bb.2:
	s_load_dwordx2 s[6:7], s[4:5], 0x8
	s_load_dwordx8 s[8:15], s[4:5], 0x18
	v_cmp_gt_i32_e64 s[2:3], s19, v36
	s_xor_b64 s[22:23], s[0:1], -1
	v_and_b32_e32 v38, 31, v0
	s_or_b64 s[22:23], s[22:23], s[2:3]
	v_lshlrev_b32_e32 v1, 4, v38
	v_ashrrev_i32_e32 v35, 31, v34
                                        ; implicit-def: $vgpr11
                                        ; implicit-def: $vgpr19
	s_and_saveexec_b64 s[24:25], s[22:23]
	s_cbranch_execz .LBB0_11
; %bb.3:
                                        ; implicit-def: $vgpr2_vgpr3
	s_and_saveexec_b64 s[2:3], vcc
	s_xor_b64 s[26:27], exec, s[2:3]
	s_cbranch_execz .LBB0_5
; %bb.4:
	s_load_dwordx2 s[2:3], s[4:5], 0x10
	v_lshlrev_b64 v[2:3], 10, v[34:35]
	s_waitcnt lgkmcnt(0)
	v_mov_b32_e32 v4, s3
	v_add_co_u32_e64 v2, s[2:3], s2, v2
	v_addc_co_u32_e64 v3, s[2:3], v4, v3, s[2:3]
	v_lshlrev_b32_e32 v4, 1, v1
	v_add_co_u32_e64 v2, s[2:3], v2, v4
	v_addc_co_u32_e64 v3, s[2:3], 0, v3, s[2:3]
.LBB0_5:
	s_andn2_saveexec_b64 s[26:27], s[26:27]
	s_cbranch_execz .LBB0_7
; %bb.6:
	s_load_dwordx2 s[2:3], s[4:5], 0x0
	v_ashrrev_i32_e32 v37, 31, v36
	v_mad_i64_i32 v[2:3], s[4:5], v34, s19, v[36:37]
	v_lshlrev_b64 v[2:3], 10, v[2:3]
	v_lshl_or_b32 v2, v1, 1, v2
	s_waitcnt lgkmcnt(0)
	v_mov_b32_e32 v4, s3
	v_add_co_u32_e64 v2, s[2:3], s2, v2
	v_addc_co_u32_e64 v3, s[2:3], v4, v3, s[2:3]
.LBB0_7:
	s_or_b64 exec, exec, s[26:27]
	global_load_dwordx4 v[16:19], v[2:3], off offset:16
	global_load_dwordx4 v[8:11], v[2:3], off
	s_or_b64 exec, exec, s[24:25]
	s_and_saveexec_b64 s[2:3], s[22:23]
	s_xor_b64 s[4:5], exec, s[2:3]
	s_cbranch_execnz .LBB0_12
.LBB0_8:
	s_andn2_saveexec_b64 s[0:1], s[4:5]
	s_cbranch_execz .LBB0_10
.LBB0_9:
	v_lshlrev_b64 v[2:3], 13, v[34:35]
	v_ashrrev_i32_e32 v37, 31, v36
	s_waitcnt lgkmcnt(0)
	v_mov_b32_e32 v0, s7
	v_add_co_u32_e32 v4, vcc, s6, v2
	v_addc_co_u32_e32 v0, vcc, v0, v3, vcc
	v_lshlrev_b64 v[2:3], 10, v[36:37]
	v_add_co_u32_e32 v2, vcc, v4, v2
	v_addc_co_u32_e32 v0, vcc, v0, v3, vcc
	v_lshlrev_b32_e32 v1, 1, v1
	s_mov_b32 s0, 0
	v_add_co_u32_e32 v4, vcc, v2, v1
	s_mov_b32 s1, s0
	v_addc_co_u32_e32 v5, vcc, 0, v0, vcc
	s_mov_b32 s2, s0
	s_mov_b32 s3, s0
	v_pk_mov_b32 v[0:1], s[0:1], s[0:1] op_sel:[0,1]
	v_pk_mov_b32 v[2:3], s[2:3], s[2:3] op_sel:[0,1]
	global_store_dwordx4 v[4:5], v[0:3], off
	global_store_dwordx4 v[4:5], v[0:3], off offset:16
.LBB0_10:
	s_endpgm
.LBB0_11:
	s_or_b64 exec, exec, s[24:25]
	s_and_saveexec_b64 s[2:3], s[22:23]
	s_xor_b64 s[4:5], exec, s[2:3]
	s_cbranch_execz .LBB0_8
.LBB0_12:
	s_waitcnt vmcnt(0)
	v_cvt_f32_f16_sdwa v3, v8 dst_sel:DWORD dst_unused:UNUSED_PAD src0_sel:WORD_1
	v_cvt_f32_f16_e32 v2, v8
	v_cvt_f32_f16_sdwa v5, v9 dst_sel:DWORD dst_unused:UNUSED_PAD src0_sel:WORD_1
	v_cvt_f32_f16_e32 v4, v9
	;; [unrolled: 2-line block ×8, first 2 shown]
	s_and_saveexec_b64 s[2:3], s[0:1]
	s_cbranch_execz .LBB0_14
; %bb.13:
	v_pk_mul_f32 v[18:19], v[2:3], v[2:3]
	v_pk_mul_f32 v[20:21], v[4:5], v[4:5]
	v_add_f32_e32 v18, v18, v19
	v_add_f32_e32 v18, v20, v18
	v_pk_mul_f32 v[22:23], v[6:7], v[6:7]
	v_add_f32_e32 v18, v21, v18
	v_add_f32_e32 v18, v22, v18
	;; [unrolled: 3-line block ×4, first 2 shown]
	v_pk_mul_f32 v[28:29], v[12:13], v[12:13]
	v_add_f32_e32 v18, v27, v18
	v_mbcnt_lo_u32_b32 v19, -1, 0
	v_add_f32_e32 v18, v28, v18
	v_mbcnt_hi_u32_b32 v19, -1, v19
	v_pk_mul_f32 v[30:31], v[14:15], v[14:15]
	v_add_f32_e32 v18, v29, v18
	v_and_b32_e32 v20, 0x60, v19
	v_add_f32_e32 v18, v30, v18
	v_add_u32_e32 v20, 32, v20
	v_xor_b32_e32 v21, 16, v19
	v_pk_mul_f32 v[32:33], v[16:17], v[16:17]
	v_add_f32_e32 v18, v31, v18
	v_cmp_lt_i32_e64 s[0:1], v21, v20
	v_add_f32_e32 v18, v32, v18
	v_cndmask_b32_e64 v21, v19, v21, s[0:1]
	v_add_f32_e32 v18, v33, v18
	v_lshlrev_b32_e32 v21, 2, v21
	ds_bpermute_b32 v21, v21, v18
	s_waitcnt lgkmcnt(0)
	v_add_f32_e32 v18, v18, v21
	v_xor_b32_e32 v21, 8, v19
	v_cmp_lt_i32_e64 s[0:1], v21, v20
	v_cndmask_b32_e64 v21, v19, v21, s[0:1]
	v_lshlrev_b32_e32 v21, 2, v21
	ds_bpermute_b32 v21, v21, v18
	s_waitcnt lgkmcnt(0)
	v_add_f32_e32 v18, v18, v21
	v_xor_b32_e32 v21, 4, v19
	v_cmp_lt_i32_e64 s[0:1], v21, v20
	v_cndmask_b32_e64 v21, v19, v21, s[0:1]
	;; [unrolled: 7-line block ×4, first 2 shown]
	v_lshlrev_b32_e32 v19, 2, v19
	ds_bpermute_b32 v19, v19, v18
	s_mov_b32 s0, 0x800000
	s_waitcnt lgkmcnt(0)
	v_add_f32_e32 v18, v18, v19
	v_mov_b32_e32 v19, s16
	v_fmac_f32_e32 v19, 0x3b000000, v18
	v_mul_f32_e32 v18, 0x4b800000, v19
	v_cmp_gt_f32_e64 s[0:1], s0, v19
	v_cndmask_b32_e64 v18, v19, v18, s[0:1]
	v_rsq_f32_e32 v18, v18
	v_mul_f32_e32 v19, 0x45800000, v18
	v_cndmask_b32_e64 v18, v18, v19, s[0:1]
	v_pk_mul_f32 v[16:17], v[18:19], v[16:17] op_sel_hi:[0,1]
	v_pk_mul_f32 v[14:15], v[18:19], v[14:15] op_sel_hi:[0,1]
	;; [unrolled: 1-line block ×8, first 2 shown]
.LBB0_14:
	s_or_b64 exec, exec, s[2:3]
	v_cmp_gt_u32_e64 s[0:1], 28, v38
	v_cmp_lt_u32_e64 s[2:3], 27, v38
	s_and_saveexec_b64 s[16:17], s[2:3]
	s_cbranch_execz .LBB0_19
; %bb.15:
	v_lshlrev_b64 v[18:19], 3, v[34:35]
	s_waitcnt lgkmcnt(0)
	v_mov_b32_e32 v20, s13
	v_add_co_u32_e64 v18, s[2:3], s12, v18
	v_addc_co_u32_e64 v19, s[2:3], v20, v19, s[2:3]
	global_load_dwordx2 v[18:19], v[18:19], off
	v_add_u32_e32 v20, 0xfffffe40, v1
	v_mov_b32_e32 v22, s15
	v_mov_b32_e32 v21, 0
	v_lshrrev_b32_e32 v20, 1, v20
	v_lshlrev_b64 v[20:21], 2, v[20:21]
	s_waitcnt vmcnt(0)
	v_lshlrev_b64 v[18:19], 8, v[18:19]
	v_add_co_u32_e64 v18, s[2:3], s14, v18
	v_addc_co_u32_e64 v19, s[2:3], v22, v19, s[2:3]
	v_add_co_u32_e64 v18, s[2:3], v18, v20
	v_addc_co_u32_e64 v19, s[2:3], v19, v21, s[2:3]
	global_load_dwordx4 v[22:25], v[18:19], off offset:128
	global_load_dwordx4 v[30:33], v[18:19], off offset:144
	global_load_dwordx4 v[40:43], v[18:19], off
	global_load_dwordx4 v[44:47], v[18:19], off offset:16
	s_waitcnt vmcnt(3)
	v_mul_f32_e32 v18, v3, v22
	v_mul_f32_e32 v19, v2, v22
	;; [unrolled: 1-line block ×8, first 2 shown]
	s_waitcnt vmcnt(2)
	v_mul_f32_e32 v26, v11, v30
	v_mul_f32_e32 v27, v10, v30
	;; [unrolled: 1-line block ×8, first 2 shown]
	s_waitcnt vmcnt(1)
	v_fma_f32 v18, v2, v40, -v18
	v_fmac_f32_e32 v19, v3, v40
	v_fma_f32 v20, v4, v41, -v20
	v_fmac_f32_e32 v21, v5, v41
	;; [unrolled: 2-line block ×4, first 2 shown]
	s_waitcnt vmcnt(0)
	v_fma_f32 v26, v10, v44, -v26
	v_fmac_f32_e32 v27, v11, v44
	v_fma_f32 v28, v12, v45, -v28
	v_fmac_f32_e32 v29, v13, v45
	;; [unrolled: 2-line block ×4, first 2 shown]
	v_pk_mov_b32 v[2:3], v[18:19], v[18:19] op_sel:[0,1]
	v_pk_mov_b32 v[4:5], v[20:21], v[20:21] op_sel:[0,1]
	;; [unrolled: 1-line block ×8, first 2 shown]
	s_or_b64 exec, exec, s[16:17]
	s_and_saveexec_b64 s[2:3], vcc
	s_xor_b64 s[12:13], exec, s[2:3]
	s_cbranch_execnz .LBB0_20
.LBB0_16:
	s_andn2_saveexec_b64 s[0:1], s[12:13]
	s_cbranch_execz .LBB0_18
.LBB0_17:
	v_cvt_f16_f32_e32 v0, v2
	v_cvt_f16_f32_e32 v18, v3
	v_lshlrev_b64 v[2:3], 13, v[34:35]
	v_cvt_f16_f32_e32 v19, v4
	v_cvt_f16_f32_e32 v20, v5
	v_ashrrev_i32_e32 v37, 31, v36
	v_mov_b32_e32 v4, s7
	v_add_co_u32_e32 v5, vcc, s6, v2
	v_cvt_f16_f32_e32 v6, v6
	v_cvt_f16_f32_e32 v7, v7
	;; [unrolled: 1-line block ×4, first 2 shown]
	v_addc_co_u32_e32 v4, vcc, v4, v3, vcc
	v_lshlrev_b64 v[2:3], 10, v[36:37]
	v_cvt_f16_f32_e32 v10, v10
	v_cvt_f16_f32_e32 v11, v11
	v_cvt_f16_f32_e32 v12, v12
	v_cvt_f16_f32_e32 v13, v13
	v_cvt_f16_f32_e32 v14, v14
	v_cvt_f16_f32_e32 v15, v15
	v_cvt_f16_f32_e32 v16, v16
	v_cvt_f16_f32_e32 v17, v17
	v_add_co_u32_e32 v2, vcc, v5, v2
	v_addc_co_u32_e32 v3, vcc, v4, v3, vcc
	v_lshlrev_b32_e32 v1, 1, v1
	v_add_co_u32_e32 v4, vcc, v2, v1
	v_addc_co_u32_e32 v5, vcc, 0, v3, vcc
	v_pack_b32_f16 v3, v8, v9
	v_pack_b32_f16 v2, v6, v7
	v_pack_b32_f16 v1, v19, v20
	v_pack_b32_f16 v0, v0, v18
	global_store_dwordx4 v[4:5], v[0:3], off
	s_nop 0
	v_pack_b32_f16 v3, v16, v17
	v_pack_b32_f16 v2, v14, v15
	;; [unrolled: 1-line block ×4, first 2 shown]
	global_store_dwordx4 v[4:5], v[0:3], off offset:16
.LBB0_18:
	s_or_b64 exec, exec, s[0:1]
                                        ; implicit-def: $vgpr34
                                        ; implicit-def: $vgpr36
                                        ; implicit-def: $vgpr1
	s_andn2_saveexec_b64 s[0:1], s[4:5]
	s_cbranch_execnz .LBB0_9
	s_branch .LBB0_10
.LBB0_19:
	s_or_b64 exec, exec, s[16:17]
	s_and_saveexec_b64 s[2:3], vcc
	s_waitcnt lgkmcnt(0)
	s_xor_b64 s[12:13], exec, s[2:3]
	s_cbranch_execz .LBB0_16
.LBB0_20:
	v_lshlrev_b64 v[18:19], 3, v[34:35]
	v_mov_b32_e32 v20, s11
	v_add_co_u32_e32 v18, vcc, s10, v18
	v_addc_co_u32_e32 v19, vcc, v20, v19, vcc
	global_load_dwordx2 v[18:19], v[18:19], off
	s_waitcnt vmcnt(0)
	v_cmp_lt_i64_e32 vcc, -1, v[18:19]
	s_and_saveexec_b64 s[10:11], vcc
                                        ; implicit-def: $vgpr35
	s_cbranch_execz .LBB0_289
; %bb.21:
	s_ashr_i32 s22, s20, 31
	v_or_b32_e32 v21, s22, v19
	v_mov_b32_e32 v20, 0
	v_cmp_ne_u64_e32 vcc, 0, v[20:21]
                                        ; implicit-def: $vgpr22_vgpr23
	s_and_saveexec_b64 s[2:3], vcc
	s_xor_b64 s[14:15], exec, s[2:3]
	s_cbranch_execz .LBB0_23
; %bb.22:
	s_add_u32 s2, s20, s22
	s_mov_b32 s16, s22
	s_mov_b32 s17, s22
	s_addc_u32 s3, s22, s22
	s_xor_b64 s[18:19], s[2:3], s[16:17]
	v_cvt_f32_u32_e32 v20, s18
	v_cvt_f32_u32_e32 v21, s19
	s_sub_u32 s2, 0, s18
	s_subb_u32 s3, 0, s19
	v_madmk_f32 v20, v21, 0x4f800000, v20
	v_rcp_f32_e32 v20, v20
	v_mul_f32_e32 v20, 0x5f7ffffc, v20
	v_mul_f32_e32 v21, 0x2f800000, v20
	v_trunc_f32_e32 v21, v21
	v_madmk_f32 v20, v21, 0xcf800000, v20
	v_cvt_u32_f32_e32 v21, v21
	v_cvt_u32_f32_e32 v20, v20
	v_mul_lo_u32 v22, s2, v21
	v_mul_hi_u32 v24, s2, v20
	v_mul_lo_u32 v23, s3, v20
	v_add_u32_e32 v22, v24, v22
	v_mul_lo_u32 v25, s2, v20
	v_add_u32_e32 v22, v22, v23
	v_mul_lo_u32 v24, v20, v22
	v_mul_hi_u32 v26, v20, v25
	v_mul_hi_u32 v23, v20, v22
	v_add_co_u32_e32 v24, vcc, v26, v24
	v_addc_co_u32_e32 v23, vcc, 0, v23, vcc
	v_mul_hi_u32 v27, v21, v25
	v_mul_lo_u32 v25, v21, v25
	v_add_co_u32_e32 v24, vcc, v24, v25
	v_mul_hi_u32 v26, v21, v22
	v_addc_co_u32_e32 v23, vcc, v23, v27, vcc
	v_addc_co_u32_e32 v24, vcc, 0, v26, vcc
	v_mul_lo_u32 v22, v21, v22
	v_add_co_u32_e32 v22, vcc, v23, v22
	v_addc_co_u32_e32 v23, vcc, 0, v24, vcc
	v_add_co_u32_e32 v20, vcc, v20, v22
	v_addc_co_u32_e32 v21, vcc, v21, v23, vcc
	v_mul_lo_u32 v22, s2, v21
	v_mul_hi_u32 v23, s2, v20
	v_add_u32_e32 v22, v23, v22
	v_mul_lo_u32 v23, s3, v20
	v_add_u32_e32 v22, v22, v23
	v_mul_lo_u32 v24, s2, v20
	v_mul_hi_u32 v25, v21, v24
	v_mul_lo_u32 v26, v21, v24
	v_mul_lo_u32 v28, v20, v22
	v_mul_hi_u32 v24, v20, v24
	v_mul_hi_u32 v27, v20, v22
	v_add_co_u32_e32 v24, vcc, v24, v28
	v_addc_co_u32_e32 v27, vcc, 0, v27, vcc
	v_add_co_u32_e32 v24, vcc, v24, v26
	v_mul_hi_u32 v23, v21, v22
	v_addc_co_u32_e32 v24, vcc, v27, v25, vcc
	v_addc_co_u32_e32 v23, vcc, 0, v23, vcc
	v_mul_lo_u32 v22, v21, v22
	v_add_co_u32_e32 v22, vcc, v24, v22
	v_addc_co_u32_e32 v23, vcc, 0, v23, vcc
	v_add_co_u32_e32 v22, vcc, v20, v22
	v_addc_co_u32_e32 v23, vcc, v21, v23, vcc
	v_ashrrev_i32_e32 v24, 31, v19
	v_add_co_u32_e32 v20, vcc, v18, v24
	v_addc_co_u32_e32 v21, vcc, v19, v24, vcc
	v_xor_b32_e32 v26, v20, v24
	v_xor_b32_e32 v25, v21, v24
	v_mad_u64_u32 v[20:21], s[2:3], v26, v23, 0
	v_mul_hi_u32 v27, v26, v22
	v_add_co_u32_e32 v27, vcc, v27, v20
	v_addc_co_u32_e32 v28, vcc, 0, v21, vcc
	v_mad_u64_u32 v[20:21], s[2:3], v25, v23, 0
	v_mad_u64_u32 v[22:23], s[2:3], v25, v22, 0
	v_add_co_u32_e32 v22, vcc, v27, v22
	v_addc_co_u32_e32 v22, vcc, v28, v23, vcc
	v_addc_co_u32_e32 v21, vcc, 0, v21, vcc
	v_add_co_u32_e32 v22, vcc, v22, v20
	v_addc_co_u32_e32 v23, vcc, 0, v21, vcc
	v_mul_lo_u32 v27, s19, v22
	v_mul_lo_u32 v28, s18, v23
	v_mad_u64_u32 v[20:21], s[2:3], s18, v22, 0
	v_add3_u32 v21, v21, v28, v27
	v_sub_u32_e32 v27, v25, v21
	v_mov_b32_e32 v28, s19
	v_sub_co_u32_e32 v20, vcc, v26, v20
	v_subb_co_u32_e64 v26, s[2:3], v27, v28, vcc
	v_subrev_co_u32_e64 v27, s[2:3], s18, v20
	v_subbrev_co_u32_e64 v26, s[2:3], 0, v26, s[2:3]
	v_cmp_le_u32_e64 s[2:3], s19, v26
	v_cndmask_b32_e64 v28, 0, -1, s[2:3]
	v_cmp_le_u32_e64 s[2:3], s18, v27
	v_cndmask_b32_e64 v27, 0, -1, s[2:3]
	v_cmp_eq_u32_e64 s[2:3], s19, v26
	v_cndmask_b32_e64 v26, v28, v27, s[2:3]
	v_add_co_u32_e64 v27, s[2:3], 2, v22
	v_subb_co_u32_e32 v21, vcc, v25, v21, vcc
	v_addc_co_u32_e64 v28, s[2:3], 0, v23, s[2:3]
	v_cmp_le_u32_e32 vcc, s19, v21
	v_add_co_u32_e64 v29, s[2:3], 1, v22
	v_cndmask_b32_e64 v25, 0, -1, vcc
	v_cmp_le_u32_e32 vcc, s18, v20
	v_addc_co_u32_e64 v30, s[2:3], 0, v23, s[2:3]
	v_cndmask_b32_e64 v20, 0, -1, vcc
	v_cmp_eq_u32_e32 vcc, s19, v21
	v_cmp_ne_u32_e64 s[2:3], 0, v26
	v_cndmask_b32_e32 v20, v25, v20, vcc
	v_cmp_ne_u32_e32 vcc, 0, v20
	v_cndmask_b32_e64 v21, v29, v27, s[2:3]
	v_cndmask_b32_e64 v26, v30, v28, s[2:3]
	v_cndmask_b32_e32 v21, v22, v21, vcc
	v_xor_b32_e32 v22, s16, v24
	v_cndmask_b32_e32 v20, v23, v26, vcc
	v_xor_b32_e32 v23, s17, v24
	v_xor_b32_e32 v21, v21, v22
	;; [unrolled: 1-line block ×3, first 2 shown]
	v_sub_co_u32_e32 v22, vcc, v21, v22
	v_subb_co_u32_e32 v23, vcc, v20, v23, vcc
.LBB0_23:
	s_andn2_saveexec_b64 s[2:3], s[14:15]
	s_cbranch_execz .LBB0_25
; %bb.24:
	v_cvt_f32_u32_e32 v20, s20
	s_sub_i32 s14, 0, s20
	v_rcp_iflag_f32_e32 v20, v20
	v_mul_f32_e32 v20, 0x4f7ffffe, v20
	v_cvt_u32_f32_e32 v20, v20
	v_mul_lo_u32 v21, s14, v20
	v_mul_hi_u32 v21, v20, v21
	v_add_u32_e32 v20, v20, v21
	v_mul_hi_u32 v20, v18, v20
	v_mul_lo_u32 v21, v20, s20
	v_sub_u32_e32 v21, v18, v21
	v_add_u32_e32 v22, 1, v20
	v_subrev_u32_e32 v23, s20, v21
	v_cmp_le_u32_e32 vcc, s20, v21
	v_cndmask_b32_e32 v21, v21, v23, vcc
	v_cndmask_b32_e32 v20, v20, v22, vcc
	v_add_u32_e32 v22, 1, v20
	v_cmp_le_u32_e32 vcc, s20, v21
	v_cndmask_b32_e32 v22, v20, v22, vcc
	v_mov_b32_e32 v23, 0
.LBB0_25:
	s_or_b64 exec, exec, s[2:3]
	v_cvt_f16_f32_e32 v33, v2
	v_cvt_f16_f32_e32 v34, v3
	;; [unrolled: 1-line block ×8, first 2 shown]
	v_cvt_f32_f16_e32 v35, v33
	v_cvt_f32_f16_e32 v32, v34
	v_cvt_f16_f32_e32 v9, v10
	v_cvt_f16_f32_e32 v10, v11
	v_cvt_f32_f16_e32 v31, v4
	v_cvt_f32_f16_e32 v30, v5
	v_cvt_f16_f32_e32 v12, v12
	v_cvt_f16_f32_e32 v39, v13
	v_mul_lo_u32 v24, v23, s20
	v_mul_lo_u32 v25, v22, s22
	v_mad_u64_u32 v[20:21], s[2:3], v22, s20, 0
	v_cvt_f32_f16_e32 v29, v6
	v_cvt_f32_f16_e32 v28, v7
	v_cvt_f16_f32_e32 v14, v14
	v_cvt_f16_f32_e32 v40, v15
	v_add3_u32 v21, v21, v25, v24
	v_sub_co_u32_e32 v18, vcc, v18, v20
	v_cvt_f32_f16_e32 v24, v36
	v_cvt_f32_f16_e32 v26, v37
	v_cvt_f16_f32_e32 v16, v16
	v_cvt_f16_f32_e32 v17, v17
	v_subb_co_u32_e32 v19, vcc, v19, v21, vcc
	s_ashr_i32 s14, s21, 31
	v_pk_mov_b32 v[20:21], s[8:9], s[8:9] op_sel:[0,1]
	v_cvt_f32_f16_e32 v27, v9
	v_cvt_f32_f16_e32 v25, v10
	v_max3_f32 v2, |v35|, 0, |v32|
	v_mad_u64_u32 v[20:21], s[2:3], v22, s21, v[20:21]
	v_mul_lo_u32 v41, v23, s21
	v_mul_lo_u32 v42, v22, s14
	v_cvt_f32_f16_e32 v23, v12
	v_cvt_f32_f16_e32 v22, v39
	v_max3_f32 v2, v2, |v31|, |v30|
	v_cvt_f32_f16_e32 v15, v14
	v_cvt_f32_f16_e32 v13, v40
	v_max3_f32 v2, v2, |v29|, |v28|
	;; [unrolled: 3-line block ×3, first 2 shown]
	v_max3_f32 v2, v2, |v27|, |v25|
	v_max3_f32 v2, v2, |v23|, |v22|
	;; [unrolled: 1-line block ×4, first 2 shown]
	v_mbcnt_lo_u32_b32 v2, -1, 0
	v_mbcnt_hi_u32_b32 v44, -1, v2
	v_and_b32_e32 v3, 64, v44
	v_xor_b32_e32 v2, 1, v44
	v_add_u32_e32 v45, 64, v3
	v_cmp_lt_i32_e32 vcc, v2, v45
	v_cndmask_b32_e32 v2, v44, v2, vcc
	v_lshlrev_b32_e32 v2, 2, v2
	ds_bpermute_b32 v46, v2, v43
	v_add3_u32 v21, v41, v21, v42
	v_xor_b32_e32 v42, 2, v44
	v_cmp_lt_i32_e32 vcc, v42, v45
	v_cndmask_b32_e32 v42, v44, v42, vcc
	s_waitcnt lgkmcnt(0)
	v_max_f32_e32 v41, v46, v46
	v_max_f32_e32 v41, v43, v41
	v_lshlrev_b32_e32 v42, 2, v42
	s_movk_i32 s8, 0x240
	ds_bpermute_b32 v42, v42, v41
	v_mad_u64_u32 v[2:3], s[2:3], v18, s8, v[20:21]
	v_mov_b32_e32 v44, v3
	v_mad_u64_u32 v[44:45], s[2:3], v19, s8, v[44:45]
	v_mov_b32_e32 v3, v44
	s_and_saveexec_b64 s[2:3], s[0:1]
	s_xor_b64 s[2:3], exec, s[2:3]
	s_cbranch_execz .LBB0_287
; %bb.26:
	s_mov_b32 s0, 0x38d1b717
	s_waitcnt lgkmcnt(0)
	v_max3_f32 v4, v41, v42, s0
	s_mov_b32 s8, 0x43e00000
	v_div_scale_f32 v5, s[0:1], s8, s8, v4
	v_rcp_f32_e32 v6, v5
	s_mov_b32 s0, 0x800000
	v_fma_f32 v7, -v5, v6, 1.0
	v_fmac_f32_e32 v6, v7, v6
	v_div_scale_f32 v7, vcc, v4, s8, v4
	v_mul_f32_e32 v9, v7, v6
	v_fma_f32 v10, -v5, v9, v7
	v_fmac_f32_e32 v9, v10, v6
	v_fma_f32 v5, -v5, v9, v7
	v_div_fmas_f32 v5, v5, v6, v9
	v_div_fixup_f32 v4, v5, s8, v4
	v_mov_b32_e32 v5, 0x4f800000
	v_cmp_gt_f32_e32 vcc, s0, v4
	v_cndmask_b32_e32 v5, 1.0, v5, vcc
	v_mul_f32_e32 v4, v4, v5
	v_log_f32_e32 v4, v4
	v_mov_b32_e32 v5, 0x42000000
	v_cndmask_b32_e32 v5, 0, v5, vcc
	s_mov_b32 s0, 0x42fc0000
	v_sub_f32_e32 v4, v4, v5
	v_ceil_f32_e32 v6, v4
	v_mov_b32_e32 v4, 0x42800000
	v_cmp_lt_f32_e32 vcc, s0, v6
	v_cndmask_b32_e32 v4, 0, v4, vcc
	v_sub_f32_e32 v4, v4, v6
	v_exp_f32_e32 v4, v4
	v_mov_b32_e32 v5, 0x1f800000
	v_cndmask_b32_e32 v5, 1.0, v5, vcc
	s_movk_i32 s0, 0x80
	v_mul_f32_e32 v9, v4, v5
	v_mul_f32_e32 v4, v9, v35
	v_max_f32_e32 v4, 0xc3e00000, v4
	v_min_f32_e32 v12, 0x43e00000, v4
	v_mov_b32_e32 v5, 0
	v_and_b32_sdwa v10, v12, s0 dst_sel:DWORD dst_unused:UNUSED_PAD src0_sel:BYTE_3 src1_sel:DWORD
	v_and_b32_e32 v16, 0x7f800000, v12
	v_mov_b32_e32 v17, v5
	s_mov_b64 s[0:1], 0x7f800000
	v_and_b32_e32 v4, 0x7fffff, v12
	v_or_b32_e32 v7, 0x7e, v10
	v_cmp_ne_u64_e32 vcc, s[0:1], v[16:17]
	s_and_saveexec_b64 s[0:1], vcc
	s_xor_b64 s[8:9], exec, s[0:1]
	s_cbranch_execz .LBB0_40
; %bb.27:
	v_and_b32_e32 v16, 0x7fffffff, v12
	v_mov_b32_e32 v17, v5
	s_mov_b64 s[0:1], 0x43e00001
	v_cmp_gt_u64_e32 vcc, s[0:1], v[16:17]
	s_and_saveexec_b64 s[0:1], vcc
	s_xor_b64 s[14:15], exec, s[0:1]
	s_cbranch_execz .LBB0_39
; %bb.28:
	v_cmp_ne_u32_e32 vcc, 0, v12
	v_mov_b32_e32 v7, 0
	s_and_saveexec_b64 s[16:17], vcc
	s_cbranch_execz .LBB0_38
; %bb.29:
	v_bfe_u32 v7, v12, 23, 8
	s_movk_i32 s0, 0x7a
	v_sub_u32_e32 v14, 0x79, v7
	v_cmp_gt_u32_e32 vcc, s0, v7
	v_add_u32_e32 v12, 0xffffff81, v7
	v_cndmask_b32_e32 v14, 0, v14, vcc
	v_mov_b32_e32 v17, 0xffffff82
	v_cmp_eq_u32_e32 vcc, 0, v7
	v_cndmask_b32_e32 v7, v12, v17, vcc
	v_mov_b32_e32 v12, 0x78
	v_cndmask_b32_e32 v12, v14, v12, vcc
	v_or_b32_e32 v16, 0x800000, v4
	v_add_u32_e32 v14, 20, v12
	v_cndmask_b32_e32 v4, v16, v4, vcc
	v_lshlrev_b64 v[16:17], v14, -1
	v_not_b32_e32 v14, v17
	v_not_b32_e32 v16, v16
	v_and_b32_e32 v17, 0, v14
	v_and_b32_e32 v16, v4, v16
	v_add_u32_e32 v14, 19, v12
	v_lshrrev_b64 v[4:5], v12, v[4:5]
	v_lshlrev_b64 v[34:35], v14, 1
	v_lshrrev_b32_e32 v14, 23, v4
	v_add3_u32 v14, v12, v7, v14
	v_bfe_u32 v12, v4, 20, 1
	v_add_u32_e32 v12, -1, v12
	v_cmp_eq_u64_e32 vcc, v[16:17], v[34:35]
	v_cndmask_b32_e32 v12, 0, v12, vcc
	v_add_u32_e32 v12, v12, v4
	v_and_b32_e32 v12, 0xfffff, v12
	v_add_co_u32_e32 v4, vcc, v12, v4
	v_add_u32_e32 v7, 6, v14
	v_addc_co_u32_e32 v5, vcc, 0, v5, vcc
	v_cmp_ne_u32_e32 vcc, 0, v7
                                        ; implicit-def: $vgpr12
	s_and_saveexec_b64 s[0:1], vcc
	s_xor_b64 s[0:1], exec, s[0:1]
; %bb.30:
	s_mov_b64 s[18:19], 0xffffff
	v_add_u32_e32 v12, 7, v14
	v_cmp_lt_u64_e32 vcc, s[18:19], v[4:5]
	v_cndmask_b32_e32 v12, v7, v12, vcc
	v_cndmask_b32_e64 v7, 0, 1, vcc
	v_lshrrev_b64 v[4:5], v7, v[4:5]
; %bb.31:
	s_andn2_saveexec_b64 s[0:1], s[0:1]
; %bb.32:
	v_bfe_u32 v12, v4, 23, 1
; %bb.33:
	s_or_b64 exec, exec, s[0:1]
	v_lshrrev_b64 v[4:5], 20, v[4:5]
	v_cmp_gt_i32_e32 vcc, 16, v12
	v_cndmask_b32_e32 v5, 0, v5, vcc
	v_cndmask_b32_e32 v4, 7, v4, vcc
	v_cmp_ne_u32_e32 vcc, 0, v12
	v_cmp_ne_u64_e64 s[0:1], 0, v[4:5]
	s_or_b64 s[0:1], vcc, s[0:1]
                                        ; implicit-def: $vgpr7
	s_and_saveexec_b64 s[18:19], s[0:1]
	s_xor_b64 s[0:1], exec, s[18:19]
; %bb.34:
	v_min_i32_e32 v5, 15, v12
	v_lshl_or_b32 v5, v5, 3, v10
	v_and_or_b32 v7, v4, 7, v5
                                        ; implicit-def: $vgpr10
; %bb.35:
	s_andn2_saveexec_b64 s[0:1], s[0:1]
; %bb.36:
	v_mov_b32_e32 v7, v10
; %bb.37:
	s_or_b64 exec, exec, s[0:1]
.LBB0_38:
	s_or_b64 exec, exec, s[16:17]
.LBB0_39:
	s_andn2_saveexec_b64 s[0:1], s[14:15]
	s_or_b64 exec, exec, s[0:1]
                                        ; implicit-def: $vgpr12
                                        ; implicit-def: $vgpr4_vgpr5
.LBB0_40:
	s_andn2_saveexec_b64 s[0:1], s[8:9]
; %bb.41:
	s_movk_i32 s8, 0x7f
	v_or_b32_sdwa v10, v12, s8 dst_sel:DWORD dst_unused:UNUSED_PAD src0_sel:BYTE_3 src1_sel:DWORD
	v_cmp_eq_u64_e32 vcc, 0, v[4:5]
	v_cndmask_b32_e32 v7, v10, v7, vcc
; %bb.42:
	s_or_b64 exec, exec, s[0:1]
	v_mul_f32_e32 v4, v9, v32
	v_max_f32_e32 v4, 0xc3e00000, v4
	v_min_f32_e32 v14, 0x43e00000, v4
	v_mov_b32_e32 v5, 0
	s_movk_i32 s0, 0x80
	v_and_b32_sdwa v12, v14, s0 dst_sel:DWORD dst_unused:UNUSED_PAD src0_sel:BYTE_3 src1_sel:DWORD
	v_and_b32_e32 v16, 0x7f800000, v14
	v_mov_b32_e32 v17, v5
	s_mov_b64 s[0:1], 0x7f800000
	v_and_b32_e32 v4, 0x7fffff, v14
	v_or_b32_e32 v10, 0x7e, v12
	v_cmp_ne_u64_e32 vcc, s[0:1], v[16:17]
	s_and_saveexec_b64 s[0:1], vcc
	s_xor_b64 s[8:9], exec, s[0:1]
	s_cbranch_execz .LBB0_56
; %bb.43:
	v_and_b32_e32 v16, 0x7fffffff, v14
	v_mov_b32_e32 v17, v5
	s_mov_b64 s[0:1], 0x43e00001
	v_cmp_gt_u64_e32 vcc, s[0:1], v[16:17]
	s_and_saveexec_b64 s[0:1], vcc
	s_xor_b64 s[14:15], exec, s[0:1]
	s_cbranch_execz .LBB0_55
; %bb.44:
	v_cmp_ne_u32_e32 vcc, 0, v14
	v_mov_b32_e32 v10, 0
	s_and_saveexec_b64 s[16:17], vcc
	s_cbranch_execz .LBB0_54
; %bb.45:
	v_bfe_u32 v10, v14, 23, 8
	s_movk_i32 s0, 0x7a
	v_sub_u32_e32 v16, 0x79, v10
	v_cmp_gt_u32_e32 vcc, s0, v10
	v_add_u32_e32 v14, 0xffffff81, v10
	v_cndmask_b32_e32 v16, 0, v16, vcc
	v_mov_b32_e32 v32, 0xffffff82
	v_cmp_eq_u32_e32 vcc, 0, v10
	v_cndmask_b32_e32 v10, v14, v32, vcc
	v_mov_b32_e32 v14, 0x78
	v_cndmask_b32_e32 v14, v16, v14, vcc
	v_or_b32_e32 v17, 0x800000, v4
	v_add_u32_e32 v16, 20, v14
	v_cndmask_b32_e32 v4, v17, v4, vcc
	v_lshlrev_b64 v[16:17], v16, -1
	v_not_b32_e32 v16, v16
	v_and_b32_e32 v32, v4, v16
	v_add_u32_e32 v16, 19, v14
	v_lshrrev_b64 v[4:5], v14, v[4:5]
	v_not_b32_e32 v17, v17
	v_lshlrev_b64 v[34:35], v16, 1
	v_lshrrev_b32_e32 v16, 23, v4
	v_and_b32_e32 v33, 0, v17
	v_add3_u32 v16, v14, v10, v16
	v_bfe_u32 v14, v4, 20, 1
	v_add_u32_e32 v14, -1, v14
	v_cmp_eq_u64_e32 vcc, v[32:33], v[34:35]
	v_cndmask_b32_e32 v14, 0, v14, vcc
	v_add_u32_e32 v14, v14, v4
	v_and_b32_e32 v14, 0xfffff, v14
	v_add_co_u32_e32 v4, vcc, v14, v4
	v_add_u32_e32 v10, 6, v16
	v_addc_co_u32_e32 v5, vcc, 0, v5, vcc
	v_cmp_ne_u32_e32 vcc, 0, v10
                                        ; implicit-def: $vgpr14
	s_and_saveexec_b64 s[0:1], vcc
	s_xor_b64 s[0:1], exec, s[0:1]
; %bb.46:
	s_mov_b64 s[18:19], 0xffffff
	v_add_u32_e32 v14, 7, v16
	v_cmp_lt_u64_e32 vcc, s[18:19], v[4:5]
	v_cndmask_b32_e32 v14, v10, v14, vcc
	v_cndmask_b32_e64 v10, 0, 1, vcc
	v_lshrrev_b64 v[4:5], v10, v[4:5]
; %bb.47:
	s_andn2_saveexec_b64 s[0:1], s[0:1]
; %bb.48:
	v_bfe_u32 v14, v4, 23, 1
; %bb.49:
	s_or_b64 exec, exec, s[0:1]
	v_lshrrev_b64 v[4:5], 20, v[4:5]
	v_cmp_gt_i32_e32 vcc, 16, v14
	v_cndmask_b32_e32 v5, 0, v5, vcc
	v_cndmask_b32_e32 v4, 7, v4, vcc
	v_cmp_ne_u32_e32 vcc, 0, v14
	v_cmp_ne_u64_e64 s[0:1], 0, v[4:5]
	s_or_b64 s[0:1], vcc, s[0:1]
                                        ; implicit-def: $vgpr10
	s_and_saveexec_b64 s[18:19], s[0:1]
	s_xor_b64 s[0:1], exec, s[18:19]
; %bb.50:
	v_min_i32_e32 v5, 15, v14
	v_lshl_or_b32 v5, v5, 3, v12
	v_and_or_b32 v10, v4, 7, v5
                                        ; implicit-def: $vgpr12
; %bb.51:
	s_andn2_saveexec_b64 s[0:1], s[0:1]
; %bb.52:
	v_mov_b32_e32 v10, v12
; %bb.53:
	s_or_b64 exec, exec, s[0:1]
.LBB0_54:
	s_or_b64 exec, exec, s[16:17]
.LBB0_55:
	s_andn2_saveexec_b64 s[0:1], s[14:15]
	s_or_b64 exec, exec, s[0:1]
                                        ; implicit-def: $vgpr14
                                        ; implicit-def: $vgpr4_vgpr5
.LBB0_56:
	s_andn2_saveexec_b64 s[0:1], s[8:9]
; %bb.57:
	s_movk_i32 s8, 0x7f
	v_or_b32_sdwa v12, v14, s8 dst_sel:DWORD dst_unused:UNUSED_PAD src0_sel:BYTE_3 src1_sel:DWORD
	v_cmp_eq_u64_e32 vcc, 0, v[4:5]
	v_cndmask_b32_e32 v10, v12, v10, vcc
; %bb.58:
	s_or_b64 exec, exec, s[0:1]
	v_mul_f32_e32 v4, v9, v31
	v_max_f32_e32 v4, 0xc3e00000, v4
	v_min_f32_e32 v16, 0x43e00000, v4
	v_mov_b32_e32 v5, 0
	s_movk_i32 s0, 0x80
	v_and_b32_sdwa v14, v16, s0 dst_sel:DWORD dst_unused:UNUSED_PAD src0_sel:BYTE_3 src1_sel:DWORD
	v_and_b32_e32 v32, 0x7f800000, v16
	v_mov_b32_e32 v33, v5
	s_mov_b64 s[0:1], 0x7f800000
	v_and_b32_e32 v4, 0x7fffff, v16
	v_or_b32_e32 v12, 0x7e, v14
	v_cmp_ne_u64_e32 vcc, s[0:1], v[32:33]
	s_and_saveexec_b64 s[0:1], vcc
	s_xor_b64 s[8:9], exec, s[0:1]
	s_cbranch_execz .LBB0_72
; %bb.59:
	v_and_b32_e32 v32, 0x7fffffff, v16
	v_mov_b32_e32 v33, v5
	s_mov_b64 s[0:1], 0x43e00001
	v_cmp_gt_u64_e32 vcc, s[0:1], v[32:33]
	s_and_saveexec_b64 s[0:1], vcc
	s_xor_b64 s[14:15], exec, s[0:1]
	s_cbranch_execz .LBB0_71
; %bb.60:
	v_cmp_ne_u32_e32 vcc, 0, v16
	v_mov_b32_e32 v12, 0
	s_and_saveexec_b64 s[16:17], vcc
	s_cbranch_execz .LBB0_70
; %bb.61:
	v_bfe_u32 v12, v16, 23, 8
	s_movk_i32 s0, 0x7a
	v_sub_u32_e32 v17, 0x79, v12
	v_cmp_gt_u32_e32 vcc, s0, v12
	v_add_u32_e32 v16, 0xffffff81, v12
	v_cndmask_b32_e32 v17, 0, v17, vcc
	v_mov_b32_e32 v32, 0xffffff82
	v_cmp_eq_u32_e32 vcc, 0, v12
	v_cndmask_b32_e32 v12, v16, v32, vcc
	v_mov_b32_e32 v16, 0x78
	v_cndmask_b32_e32 v36, v17, v16, vcc
	v_add_u32_e32 v16, 20, v36
	v_or_b32_e32 v31, 0x800000, v4
	v_lshlrev_b64 v[16:17], v16, -1
	v_cndmask_b32_e32 v4, v31, v4, vcc
	v_not_b32_e32 v16, v16
	v_and_b32_e32 v32, v4, v16
	v_add_u32_e32 v16, 19, v36
	v_lshrrev_b64 v[4:5], v36, v[4:5]
	v_not_b32_e32 v17, v17
	v_lshlrev_b64 v[34:35], v16, 1
	v_lshrrev_b32_e32 v16, 23, v4
	v_and_b32_e32 v33, 0, v17
	v_add3_u32 v17, v36, v12, v16
	v_bfe_u32 v16, v4, 20, 1
	v_add_u32_e32 v16, -1, v16
	v_cmp_eq_u64_e32 vcc, v[32:33], v[34:35]
	v_cndmask_b32_e32 v16, 0, v16, vcc
	v_add_u32_e32 v16, v16, v4
	v_and_b32_e32 v16, 0xfffff, v16
	v_add_co_u32_e32 v4, vcc, v16, v4
	v_add_u32_e32 v12, 6, v17
	v_addc_co_u32_e32 v5, vcc, 0, v5, vcc
	v_cmp_ne_u32_e32 vcc, 0, v12
                                        ; implicit-def: $vgpr16
	s_and_saveexec_b64 s[0:1], vcc
	s_xor_b64 s[0:1], exec, s[0:1]
; %bb.62:
	s_mov_b64 s[18:19], 0xffffff
	v_add_u32_e32 v16, 7, v17
	v_cmp_lt_u64_e32 vcc, s[18:19], v[4:5]
	v_cndmask_b32_e32 v16, v12, v16, vcc
	v_cndmask_b32_e64 v12, 0, 1, vcc
	v_lshrrev_b64 v[4:5], v12, v[4:5]
; %bb.63:
	s_andn2_saveexec_b64 s[0:1], s[0:1]
; %bb.64:
	v_bfe_u32 v16, v4, 23, 1
; %bb.65:
	s_or_b64 exec, exec, s[0:1]
	v_lshrrev_b64 v[4:5], 20, v[4:5]
	v_cmp_gt_i32_e32 vcc, 16, v16
	v_cndmask_b32_e32 v5, 0, v5, vcc
	v_cndmask_b32_e32 v4, 7, v4, vcc
	v_cmp_ne_u32_e32 vcc, 0, v16
	v_cmp_ne_u64_e64 s[0:1], 0, v[4:5]
	s_or_b64 s[0:1], vcc, s[0:1]
                                        ; implicit-def: $vgpr12
	s_and_saveexec_b64 s[18:19], s[0:1]
	s_xor_b64 s[0:1], exec, s[18:19]
; %bb.66:
	v_min_i32_e32 v5, 15, v16
	v_lshl_or_b32 v5, v5, 3, v14
	v_and_or_b32 v12, v4, 7, v5
                                        ; implicit-def: $vgpr14
; %bb.67:
	s_andn2_saveexec_b64 s[0:1], s[0:1]
; %bb.68:
	v_mov_b32_e32 v12, v14
; %bb.69:
	s_or_b64 exec, exec, s[0:1]
.LBB0_70:
	s_or_b64 exec, exec, s[16:17]
.LBB0_71:
	s_andn2_saveexec_b64 s[0:1], s[14:15]
	s_or_b64 exec, exec, s[0:1]
                                        ; implicit-def: $vgpr16
                                        ; implicit-def: $vgpr4_vgpr5
.LBB0_72:
	s_andn2_saveexec_b64 s[0:1], s[8:9]
; %bb.73:
	s_movk_i32 s8, 0x7f
	v_or_b32_sdwa v14, v16, s8 dst_sel:DWORD dst_unused:UNUSED_PAD src0_sel:BYTE_3 src1_sel:DWORD
	v_cmp_eq_u64_e32 vcc, 0, v[4:5]
	v_cndmask_b32_e32 v12, v14, v12, vcc
; %bb.74:
	s_or_b64 exec, exec, s[0:1]
	v_mul_f32_e32 v4, v9, v30
	v_max_f32_e32 v4, 0xc3e00000, v4
	v_min_f32_e32 v17, 0x43e00000, v4
	v_mov_b32_e32 v5, 0
	s_movk_i32 s0, 0x80
	v_and_b32_sdwa v16, v17, s0 dst_sel:DWORD dst_unused:UNUSED_PAD src0_sel:BYTE_3 src1_sel:DWORD
	v_and_b32_e32 v30, 0x7f800000, v17
	v_mov_b32_e32 v31, v5
	s_mov_b64 s[0:1], 0x7f800000
	v_and_b32_e32 v4, 0x7fffff, v17
	v_or_b32_e32 v14, 0x7e, v16
	v_cmp_ne_u64_e32 vcc, s[0:1], v[30:31]
	s_and_saveexec_b64 s[0:1], vcc
	s_xor_b64 s[8:9], exec, s[0:1]
	s_cbranch_execz .LBB0_88
; %bb.75:
	v_and_b32_e32 v30, 0x7fffffff, v17
	v_mov_b32_e32 v31, v5
	s_mov_b64 s[0:1], 0x43e00001
	v_cmp_gt_u64_e32 vcc, s[0:1], v[30:31]
	s_and_saveexec_b64 s[0:1], vcc
	s_xor_b64 s[14:15], exec, s[0:1]
	s_cbranch_execz .LBB0_87
; %bb.76:
	v_cmp_ne_u32_e32 vcc, 0, v17
	v_mov_b32_e32 v14, 0
	s_and_saveexec_b64 s[16:17], vcc
	s_cbranch_execz .LBB0_86
; %bb.77:
	v_bfe_u32 v14, v17, 23, 8
	s_movk_i32 s0, 0x7a
	v_sub_u32_e32 v30, 0x79, v14
	v_cmp_gt_u32_e32 vcc, s0, v14
	v_add_u32_e32 v17, 0xffffff81, v14
	v_cndmask_b32_e32 v30, 0, v30, vcc
	v_mov_b32_e32 v32, 0xffffff82
	v_cmp_eq_u32_e32 vcc, 0, v14
	v_cndmask_b32_e32 v14, v17, v32, vcc
	v_mov_b32_e32 v17, 0x78
	v_cndmask_b32_e32 v17, v30, v17, vcc
	v_or_b32_e32 v31, 0x800000, v4
	v_add_u32_e32 v30, 20, v17
	v_cndmask_b32_e32 v4, v31, v4, vcc
	v_lshlrev_b64 v[30:31], v30, -1
	v_not_b32_e32 v30, v30
	v_and_b32_e32 v32, v4, v30
	v_add_u32_e32 v30, 19, v17
	v_lshrrev_b64 v[4:5], v17, v[4:5]
	v_not_b32_e32 v31, v31
	v_lshlrev_b64 v[34:35], v30, 1
	v_lshrrev_b32_e32 v30, 23, v4
	v_and_b32_e32 v33, 0, v31
	v_add3_u32 v30, v17, v14, v30
	v_bfe_u32 v17, v4, 20, 1
	v_add_u32_e32 v17, -1, v17
	v_cmp_eq_u64_e32 vcc, v[32:33], v[34:35]
	v_cndmask_b32_e32 v17, 0, v17, vcc
	v_add_u32_e32 v17, v17, v4
	v_and_b32_e32 v17, 0xfffff, v17
	v_add_co_u32_e32 v4, vcc, v17, v4
	v_add_u32_e32 v14, 6, v30
	v_addc_co_u32_e32 v5, vcc, 0, v5, vcc
	v_cmp_ne_u32_e32 vcc, 0, v14
                                        ; implicit-def: $vgpr17
	s_and_saveexec_b64 s[0:1], vcc
	s_xor_b64 s[0:1], exec, s[0:1]
; %bb.78:
	s_mov_b64 s[18:19], 0xffffff
	v_add_u32_e32 v17, 7, v30
	v_cmp_lt_u64_e32 vcc, s[18:19], v[4:5]
	v_cndmask_b32_e32 v17, v14, v17, vcc
	v_cndmask_b32_e64 v14, 0, 1, vcc
	v_lshrrev_b64 v[4:5], v14, v[4:5]
; %bb.79:
	s_andn2_saveexec_b64 s[0:1], s[0:1]
; %bb.80:
	v_bfe_u32 v17, v4, 23, 1
; %bb.81:
	s_or_b64 exec, exec, s[0:1]
	v_lshrrev_b64 v[4:5], 20, v[4:5]
	v_cmp_gt_i32_e32 vcc, 16, v17
	v_cndmask_b32_e32 v5, 0, v5, vcc
	v_cndmask_b32_e32 v4, 7, v4, vcc
	v_cmp_ne_u32_e32 vcc, 0, v17
	v_cmp_ne_u64_e64 s[0:1], 0, v[4:5]
	s_or_b64 s[0:1], vcc, s[0:1]
                                        ; implicit-def: $vgpr14
	s_and_saveexec_b64 s[18:19], s[0:1]
	s_xor_b64 s[0:1], exec, s[18:19]
; %bb.82:
	v_min_i32_e32 v5, 15, v17
	v_lshl_or_b32 v5, v5, 3, v16
	v_and_or_b32 v14, v4, 7, v5
                                        ; implicit-def: $vgpr16
; %bb.83:
	s_andn2_saveexec_b64 s[0:1], s[0:1]
; %bb.84:
	v_mov_b32_e32 v14, v16
; %bb.85:
	s_or_b64 exec, exec, s[0:1]
.LBB0_86:
	s_or_b64 exec, exec, s[16:17]
.LBB0_87:
	s_andn2_saveexec_b64 s[0:1], s[14:15]
	s_or_b64 exec, exec, s[0:1]
                                        ; implicit-def: $vgpr17
                                        ; implicit-def: $vgpr4_vgpr5
.LBB0_88:
	s_andn2_saveexec_b64 s[0:1], s[8:9]
; %bb.89:
	s_movk_i32 s8, 0x7f
	v_or_b32_sdwa v16, v17, s8 dst_sel:DWORD dst_unused:UNUSED_PAD src0_sel:BYTE_3 src1_sel:DWORD
	v_cmp_eq_u64_e32 vcc, 0, v[4:5]
	v_cndmask_b32_e32 v14, v16, v14, vcc
; %bb.90:
	s_or_b64 exec, exec, s[0:1]
	v_mul_f32_e32 v4, v9, v29
	v_max_f32_e32 v4, 0xc3e00000, v4
	v_min_f32_e32 v29, 0x43e00000, v4
	v_mov_b32_e32 v5, 0
	s_movk_i32 s0, 0x80
	v_and_b32_sdwa v17, v29, s0 dst_sel:DWORD dst_unused:UNUSED_PAD src0_sel:BYTE_3 src1_sel:DWORD
	v_and_b32_e32 v30, 0x7f800000, v29
	v_mov_b32_e32 v31, v5
	s_mov_b64 s[0:1], 0x7f800000
	v_and_b32_e32 v4, 0x7fffff, v29
	v_or_b32_e32 v16, 0x7e, v17
	v_cmp_ne_u64_e32 vcc, s[0:1], v[30:31]
	s_and_saveexec_b64 s[0:1], vcc
	s_xor_b64 s[8:9], exec, s[0:1]
	s_cbranch_execz .LBB0_104
; %bb.91:
	v_and_b32_e32 v30, 0x7fffffff, v29
	v_mov_b32_e32 v31, v5
	s_mov_b64 s[0:1], 0x43e00001
	v_cmp_gt_u64_e32 vcc, s[0:1], v[30:31]
	s_and_saveexec_b64 s[0:1], vcc
	s_xor_b64 s[14:15], exec, s[0:1]
	s_cbranch_execz .LBB0_103
; %bb.92:
	v_cmp_ne_u32_e32 vcc, 0, v29
	v_mov_b32_e32 v16, 0
	s_and_saveexec_b64 s[16:17], vcc
	s_cbranch_execz .LBB0_102
; %bb.93:
	v_bfe_u32 v16, v29, 23, 8
	s_movk_i32 s0, 0x7a
	v_sub_u32_e32 v30, 0x79, v16
	v_cmp_gt_u32_e32 vcc, s0, v16
	v_add_u32_e32 v29, 0xffffff81, v16
	v_cndmask_b32_e32 v30, 0, v30, vcc
	v_mov_b32_e32 v32, 0xffffff82
	v_cmp_eq_u32_e32 vcc, 0, v16
	v_cndmask_b32_e32 v16, v29, v32, vcc
	v_mov_b32_e32 v29, 0x78
	v_cndmask_b32_e32 v29, v30, v29, vcc
	v_or_b32_e32 v31, 0x800000, v4
	v_add_u32_e32 v30, 20, v29
	v_cndmask_b32_e32 v4, v31, v4, vcc
	v_lshlrev_b64 v[30:31], v30, -1
	v_not_b32_e32 v30, v30
	v_and_b32_e32 v32, v4, v30
	v_add_u32_e32 v30, 19, v29
	v_lshrrev_b64 v[4:5], v29, v[4:5]
	v_not_b32_e32 v31, v31
	v_lshlrev_b64 v[34:35], v30, 1
	v_lshrrev_b32_e32 v30, 23, v4
	v_and_b32_e32 v33, 0, v31
	v_add3_u32 v30, v29, v16, v30
	v_bfe_u32 v29, v4, 20, 1
	v_add_u32_e32 v29, -1, v29
	v_cmp_eq_u64_e32 vcc, v[32:33], v[34:35]
	v_cndmask_b32_e32 v29, 0, v29, vcc
	v_add_u32_e32 v29, v29, v4
	v_and_b32_e32 v29, 0xfffff, v29
	v_add_co_u32_e32 v4, vcc, v29, v4
	v_add_u32_e32 v16, 6, v30
	v_addc_co_u32_e32 v5, vcc, 0, v5, vcc
	v_cmp_ne_u32_e32 vcc, 0, v16
                                        ; implicit-def: $vgpr29
	s_and_saveexec_b64 s[0:1], vcc
	s_xor_b64 s[0:1], exec, s[0:1]
; %bb.94:
	s_mov_b64 s[18:19], 0xffffff
	v_add_u32_e32 v29, 7, v30
	v_cmp_lt_u64_e32 vcc, s[18:19], v[4:5]
	v_cndmask_b32_e32 v29, v16, v29, vcc
	v_cndmask_b32_e64 v16, 0, 1, vcc
	v_lshrrev_b64 v[4:5], v16, v[4:5]
; %bb.95:
	s_andn2_saveexec_b64 s[0:1], s[0:1]
; %bb.96:
	v_bfe_u32 v29, v4, 23, 1
; %bb.97:
	s_or_b64 exec, exec, s[0:1]
	v_lshrrev_b64 v[4:5], 20, v[4:5]
	v_cmp_gt_i32_e32 vcc, 16, v29
	v_cndmask_b32_e32 v5, 0, v5, vcc
	v_cndmask_b32_e32 v4, 7, v4, vcc
	v_cmp_ne_u32_e32 vcc, 0, v29
	v_cmp_ne_u64_e64 s[0:1], 0, v[4:5]
	s_or_b64 s[0:1], vcc, s[0:1]
                                        ; implicit-def: $vgpr16
	s_and_saveexec_b64 s[18:19], s[0:1]
	s_xor_b64 s[0:1], exec, s[18:19]
; %bb.98:
	v_min_i32_e32 v5, 15, v29
	v_lshl_or_b32 v5, v5, 3, v17
	v_and_or_b32 v16, v4, 7, v5
                                        ; implicit-def: $vgpr17
; %bb.99:
	s_andn2_saveexec_b64 s[0:1], s[0:1]
; %bb.100:
	v_mov_b32_e32 v16, v17
; %bb.101:
	s_or_b64 exec, exec, s[0:1]
.LBB0_102:
	s_or_b64 exec, exec, s[16:17]
.LBB0_103:
	s_andn2_saveexec_b64 s[0:1], s[14:15]
	s_or_b64 exec, exec, s[0:1]
                                        ; implicit-def: $vgpr29
                                        ; implicit-def: $vgpr4_vgpr5
.LBB0_104:
	s_andn2_saveexec_b64 s[0:1], s[8:9]
; %bb.105:
	s_movk_i32 s8, 0x7f
	v_or_b32_sdwa v17, v29, s8 dst_sel:DWORD dst_unused:UNUSED_PAD src0_sel:BYTE_3 src1_sel:DWORD
	v_cmp_eq_u64_e32 vcc, 0, v[4:5]
	v_cndmask_b32_e32 v16, v17, v16, vcc
; %bb.106:
	s_or_b64 exec, exec, s[0:1]
	v_mul_f32_e32 v4, v9, v28
	v_max_f32_e32 v4, 0xc3e00000, v4
	v_min_f32_e32 v29, 0x43e00000, v4
	v_mov_b32_e32 v5, 0
	s_movk_i32 s0, 0x80
	v_and_b32_sdwa v28, v29, s0 dst_sel:DWORD dst_unused:UNUSED_PAD src0_sel:BYTE_3 src1_sel:DWORD
	v_and_b32_e32 v30, 0x7f800000, v29
	v_mov_b32_e32 v31, v5
	s_mov_b64 s[0:1], 0x7f800000
	v_and_b32_e32 v4, 0x7fffff, v29
	v_or_b32_e32 v17, 0x7e, v28
	v_cmp_ne_u64_e32 vcc, s[0:1], v[30:31]
	s_and_saveexec_b64 s[0:1], vcc
	s_xor_b64 s[8:9], exec, s[0:1]
	s_cbranch_execz .LBB0_120
; %bb.107:
	v_and_b32_e32 v30, 0x7fffffff, v29
	v_mov_b32_e32 v31, v5
	s_mov_b64 s[0:1], 0x43e00001
	v_cmp_gt_u64_e32 vcc, s[0:1], v[30:31]
	s_and_saveexec_b64 s[0:1], vcc
	s_xor_b64 s[14:15], exec, s[0:1]
	s_cbranch_execz .LBB0_119
; %bb.108:
	v_cmp_ne_u32_e32 vcc, 0, v29
	v_mov_b32_e32 v17, 0
	s_and_saveexec_b64 s[16:17], vcc
	s_cbranch_execz .LBB0_118
; %bb.109:
	v_bfe_u32 v17, v29, 23, 8
	s_movk_i32 s0, 0x7a
	v_sub_u32_e32 v30, 0x79, v17
	v_cmp_gt_u32_e32 vcc, s0, v17
	v_add_u32_e32 v29, 0xffffff81, v17
	v_cndmask_b32_e32 v30, 0, v30, vcc
	v_mov_b32_e32 v32, 0xffffff82
	v_cmp_eq_u32_e32 vcc, 0, v17
	v_cndmask_b32_e32 v17, v29, v32, vcc
	v_mov_b32_e32 v29, 0x78
	v_cndmask_b32_e32 v29, v30, v29, vcc
	v_or_b32_e32 v31, 0x800000, v4
	v_add_u32_e32 v30, 20, v29
	v_cndmask_b32_e32 v4, v31, v4, vcc
	v_lshlrev_b64 v[30:31], v30, -1
	v_not_b32_e32 v30, v30
	v_and_b32_e32 v32, v4, v30
	v_add_u32_e32 v30, 19, v29
	v_lshrrev_b64 v[4:5], v29, v[4:5]
	v_not_b32_e32 v31, v31
	v_lshlrev_b64 v[34:35], v30, 1
	v_lshrrev_b32_e32 v30, 23, v4
	v_and_b32_e32 v33, 0, v31
	v_add3_u32 v30, v29, v17, v30
	v_bfe_u32 v29, v4, 20, 1
	v_add_u32_e32 v29, -1, v29
	v_cmp_eq_u64_e32 vcc, v[32:33], v[34:35]
	v_cndmask_b32_e32 v29, 0, v29, vcc
	v_add_u32_e32 v29, v29, v4
	v_and_b32_e32 v29, 0xfffff, v29
	v_add_co_u32_e32 v4, vcc, v29, v4
	v_add_u32_e32 v17, 6, v30
	v_addc_co_u32_e32 v5, vcc, 0, v5, vcc
	v_cmp_ne_u32_e32 vcc, 0, v17
                                        ; implicit-def: $vgpr29
	s_and_saveexec_b64 s[0:1], vcc
	s_xor_b64 s[0:1], exec, s[0:1]
; %bb.110:
	s_mov_b64 s[18:19], 0xffffff
	v_add_u32_e32 v29, 7, v30
	v_cmp_lt_u64_e32 vcc, s[18:19], v[4:5]
	v_cndmask_b32_e32 v29, v17, v29, vcc
	v_cndmask_b32_e64 v17, 0, 1, vcc
	v_lshrrev_b64 v[4:5], v17, v[4:5]
; %bb.111:
	s_andn2_saveexec_b64 s[0:1], s[0:1]
; %bb.112:
	v_bfe_u32 v29, v4, 23, 1
; %bb.113:
	s_or_b64 exec, exec, s[0:1]
	v_lshrrev_b64 v[4:5], 20, v[4:5]
	v_cmp_gt_i32_e32 vcc, 16, v29
	v_cndmask_b32_e32 v5, 0, v5, vcc
	v_cndmask_b32_e32 v4, 7, v4, vcc
	v_cmp_ne_u32_e32 vcc, 0, v29
	v_cmp_ne_u64_e64 s[0:1], 0, v[4:5]
	s_or_b64 s[0:1], vcc, s[0:1]
                                        ; implicit-def: $vgpr17
	s_and_saveexec_b64 s[18:19], s[0:1]
	s_xor_b64 s[0:1], exec, s[18:19]
; %bb.114:
	v_min_i32_e32 v5, 15, v29
	v_lshl_or_b32 v5, v5, 3, v28
	v_and_or_b32 v17, v4, 7, v5
                                        ; implicit-def: $vgpr28
; %bb.115:
	s_andn2_saveexec_b64 s[0:1], s[0:1]
; %bb.116:
	v_mov_b32_e32 v17, v28
; %bb.117:
	s_or_b64 exec, exec, s[0:1]
.LBB0_118:
	s_or_b64 exec, exec, s[16:17]
.LBB0_119:
	s_andn2_saveexec_b64 s[0:1], s[14:15]
	s_or_b64 exec, exec, s[0:1]
                                        ; implicit-def: $vgpr29
                                        ; implicit-def: $vgpr4_vgpr5
.LBB0_120:
	s_andn2_saveexec_b64 s[0:1], s[8:9]
; %bb.121:
	s_movk_i32 s8, 0x7f
	v_or_b32_sdwa v28, v29, s8 dst_sel:DWORD dst_unused:UNUSED_PAD src0_sel:BYTE_3 src1_sel:DWORD
	v_cmp_eq_u64_e32 vcc, 0, v[4:5]
	v_cndmask_b32_e32 v17, v28, v17, vcc
; %bb.122:
	s_or_b64 exec, exec, s[0:1]
	v_mul_f32_e32 v4, v9, v24
	v_max_f32_e32 v4, 0xc3e00000, v4
	v_min_f32_e32 v29, 0x43e00000, v4
	v_mov_b32_e32 v5, 0
	s_movk_i32 s0, 0x80
	v_and_b32_sdwa v28, v29, s0 dst_sel:DWORD dst_unused:UNUSED_PAD src0_sel:BYTE_3 src1_sel:DWORD
	v_and_b32_e32 v30, 0x7f800000, v29
	v_mov_b32_e32 v31, v5
	s_mov_b64 s[0:1], 0x7f800000
	v_and_b32_e32 v4, 0x7fffff, v29
	v_or_b32_e32 v24, 0x7e, v28
	v_cmp_ne_u64_e32 vcc, s[0:1], v[30:31]
	s_and_saveexec_b64 s[0:1], vcc
	s_xor_b64 s[8:9], exec, s[0:1]
	s_cbranch_execz .LBB0_136
; %bb.123:
	v_and_b32_e32 v30, 0x7fffffff, v29
	v_mov_b32_e32 v31, v5
	s_mov_b64 s[0:1], 0x43e00001
	v_cmp_gt_u64_e32 vcc, s[0:1], v[30:31]
	s_and_saveexec_b64 s[0:1], vcc
	s_xor_b64 s[14:15], exec, s[0:1]
	s_cbranch_execz .LBB0_135
; %bb.124:
	v_cmp_ne_u32_e32 vcc, 0, v29
	v_mov_b32_e32 v24, 0
	s_and_saveexec_b64 s[16:17], vcc
	s_cbranch_execz .LBB0_134
; %bb.125:
	v_bfe_u32 v24, v29, 23, 8
	s_movk_i32 s0, 0x7a
	v_sub_u32_e32 v30, 0x79, v24
	v_cmp_gt_u32_e32 vcc, s0, v24
	v_add_u32_e32 v29, 0xffffff81, v24
	v_cndmask_b32_e32 v30, 0, v30, vcc
	v_mov_b32_e32 v32, 0xffffff82
	v_cmp_eq_u32_e32 vcc, 0, v24
	v_cndmask_b32_e32 v24, v29, v32, vcc
	v_mov_b32_e32 v29, 0x78
	v_cndmask_b32_e32 v29, v30, v29, vcc
	v_or_b32_e32 v31, 0x800000, v4
	v_add_u32_e32 v30, 20, v29
	v_cndmask_b32_e32 v4, v31, v4, vcc
	v_lshlrev_b64 v[30:31], v30, -1
	v_not_b32_e32 v30, v30
	v_and_b32_e32 v32, v4, v30
	v_add_u32_e32 v30, 19, v29
	v_lshrrev_b64 v[4:5], v29, v[4:5]
	v_not_b32_e32 v31, v31
	v_lshlrev_b64 v[34:35], v30, 1
	v_lshrrev_b32_e32 v30, 23, v4
	v_and_b32_e32 v33, 0, v31
	v_add3_u32 v30, v29, v24, v30
	v_bfe_u32 v29, v4, 20, 1
	v_add_u32_e32 v29, -1, v29
	v_cmp_eq_u64_e32 vcc, v[32:33], v[34:35]
	v_cndmask_b32_e32 v29, 0, v29, vcc
	v_add_u32_e32 v29, v29, v4
	v_and_b32_e32 v29, 0xfffff, v29
	v_add_co_u32_e32 v4, vcc, v29, v4
	v_add_u32_e32 v24, 6, v30
	v_addc_co_u32_e32 v5, vcc, 0, v5, vcc
	v_cmp_ne_u32_e32 vcc, 0, v24
                                        ; implicit-def: $vgpr29
	s_and_saveexec_b64 s[0:1], vcc
	s_xor_b64 s[0:1], exec, s[0:1]
; %bb.126:
	s_mov_b64 s[18:19], 0xffffff
	v_add_u32_e32 v29, 7, v30
	v_cmp_lt_u64_e32 vcc, s[18:19], v[4:5]
	v_cndmask_b32_e32 v29, v24, v29, vcc
	v_cndmask_b32_e64 v24, 0, 1, vcc
	v_lshrrev_b64 v[4:5], v24, v[4:5]
; %bb.127:
	s_andn2_saveexec_b64 s[0:1], s[0:1]
; %bb.128:
	v_bfe_u32 v29, v4, 23, 1
; %bb.129:
	s_or_b64 exec, exec, s[0:1]
	v_lshrrev_b64 v[4:5], 20, v[4:5]
	v_cmp_gt_i32_e32 vcc, 16, v29
	v_cndmask_b32_e32 v5, 0, v5, vcc
	v_cndmask_b32_e32 v4, 7, v4, vcc
	v_cmp_ne_u32_e32 vcc, 0, v29
	v_cmp_ne_u64_e64 s[0:1], 0, v[4:5]
	s_or_b64 s[0:1], vcc, s[0:1]
                                        ; implicit-def: $vgpr24
	s_and_saveexec_b64 s[18:19], s[0:1]
	s_xor_b64 s[0:1], exec, s[18:19]
; %bb.130:
	v_min_i32_e32 v5, 15, v29
	v_lshl_or_b32 v5, v5, 3, v28
	v_and_or_b32 v24, v4, 7, v5
                                        ; implicit-def: $vgpr28
; %bb.131:
	s_andn2_saveexec_b64 s[0:1], s[0:1]
; %bb.132:
	v_mov_b32_e32 v24, v28
; %bb.133:
	s_or_b64 exec, exec, s[0:1]
.LBB0_134:
	s_or_b64 exec, exec, s[16:17]
.LBB0_135:
	s_andn2_saveexec_b64 s[0:1], s[14:15]
	s_or_b64 exec, exec, s[0:1]
                                        ; implicit-def: $vgpr29
                                        ; implicit-def: $vgpr4_vgpr5
.LBB0_136:
	s_andn2_saveexec_b64 s[0:1], s[8:9]
; %bb.137:
	s_movk_i32 s8, 0x7f
	v_or_b32_sdwa v28, v29, s8 dst_sel:DWORD dst_unused:UNUSED_PAD src0_sel:BYTE_3 src1_sel:DWORD
	v_cmp_eq_u64_e32 vcc, 0, v[4:5]
	v_cndmask_b32_e32 v24, v28, v24, vcc
; %bb.138:
	s_or_b64 exec, exec, s[0:1]
	v_mul_f32_e32 v4, v9, v26
	v_max_f32_e32 v4, 0xc3e00000, v4
	v_min_f32_e32 v29, 0x43e00000, v4
	v_mov_b32_e32 v5, 0
	s_movk_i32 s0, 0x80
	v_and_b32_sdwa v28, v29, s0 dst_sel:DWORD dst_unused:UNUSED_PAD src0_sel:BYTE_3 src1_sel:DWORD
	v_and_b32_e32 v30, 0x7f800000, v29
	v_mov_b32_e32 v31, v5
	s_mov_b64 s[0:1], 0x7f800000
	v_and_b32_e32 v4, 0x7fffff, v29
	v_or_b32_e32 v26, 0x7e, v28
	v_cmp_ne_u64_e32 vcc, s[0:1], v[30:31]
	s_and_saveexec_b64 s[0:1], vcc
	s_xor_b64 s[8:9], exec, s[0:1]
	s_cbranch_execz .LBB0_152
; %bb.139:
	v_and_b32_e32 v30, 0x7fffffff, v29
	v_mov_b32_e32 v31, v5
	s_mov_b64 s[0:1], 0x43e00001
	v_cmp_gt_u64_e32 vcc, s[0:1], v[30:31]
	s_and_saveexec_b64 s[0:1], vcc
	s_xor_b64 s[14:15], exec, s[0:1]
	s_cbranch_execz .LBB0_151
; %bb.140:
	v_cmp_ne_u32_e32 vcc, 0, v29
	v_mov_b32_e32 v26, 0
	s_and_saveexec_b64 s[16:17], vcc
	s_cbranch_execz .LBB0_150
; %bb.141:
	v_bfe_u32 v26, v29, 23, 8
	s_movk_i32 s0, 0x7a
	v_sub_u32_e32 v30, 0x79, v26
	v_cmp_gt_u32_e32 vcc, s0, v26
	v_add_u32_e32 v29, 0xffffff81, v26
	v_cndmask_b32_e32 v30, 0, v30, vcc
	v_mov_b32_e32 v32, 0xffffff82
	v_cmp_eq_u32_e32 vcc, 0, v26
	v_cndmask_b32_e32 v26, v29, v32, vcc
	v_mov_b32_e32 v29, 0x78
	v_cndmask_b32_e32 v29, v30, v29, vcc
	v_or_b32_e32 v31, 0x800000, v4
	v_add_u32_e32 v30, 20, v29
	v_cndmask_b32_e32 v4, v31, v4, vcc
	v_lshlrev_b64 v[30:31], v30, -1
	v_not_b32_e32 v30, v30
	v_and_b32_e32 v32, v4, v30
	v_add_u32_e32 v30, 19, v29
	v_lshrrev_b64 v[4:5], v29, v[4:5]
	v_not_b32_e32 v31, v31
	v_lshlrev_b64 v[34:35], v30, 1
	v_lshrrev_b32_e32 v30, 23, v4
	v_and_b32_e32 v33, 0, v31
	v_add3_u32 v30, v29, v26, v30
	v_bfe_u32 v29, v4, 20, 1
	v_add_u32_e32 v29, -1, v29
	v_cmp_eq_u64_e32 vcc, v[32:33], v[34:35]
	v_cndmask_b32_e32 v29, 0, v29, vcc
	v_add_u32_e32 v29, v29, v4
	v_and_b32_e32 v29, 0xfffff, v29
	v_add_co_u32_e32 v4, vcc, v29, v4
	v_add_u32_e32 v26, 6, v30
	v_addc_co_u32_e32 v5, vcc, 0, v5, vcc
	v_cmp_ne_u32_e32 vcc, 0, v26
                                        ; implicit-def: $vgpr29
	s_and_saveexec_b64 s[0:1], vcc
	s_xor_b64 s[0:1], exec, s[0:1]
; %bb.142:
	s_mov_b64 s[18:19], 0xffffff
	v_add_u32_e32 v29, 7, v30
	v_cmp_lt_u64_e32 vcc, s[18:19], v[4:5]
	v_cndmask_b32_e32 v29, v26, v29, vcc
	v_cndmask_b32_e64 v26, 0, 1, vcc
	v_lshrrev_b64 v[4:5], v26, v[4:5]
; %bb.143:
	s_andn2_saveexec_b64 s[0:1], s[0:1]
; %bb.144:
	v_bfe_u32 v29, v4, 23, 1
; %bb.145:
	s_or_b64 exec, exec, s[0:1]
	v_lshrrev_b64 v[4:5], 20, v[4:5]
	v_cmp_gt_i32_e32 vcc, 16, v29
	v_cndmask_b32_e32 v5, 0, v5, vcc
	v_cndmask_b32_e32 v4, 7, v4, vcc
	v_cmp_ne_u32_e32 vcc, 0, v29
	v_cmp_ne_u64_e64 s[0:1], 0, v[4:5]
	s_or_b64 s[0:1], vcc, s[0:1]
                                        ; implicit-def: $vgpr26
	s_and_saveexec_b64 s[18:19], s[0:1]
	s_xor_b64 s[0:1], exec, s[18:19]
; %bb.146:
	v_min_i32_e32 v5, 15, v29
	v_lshl_or_b32 v5, v5, 3, v28
	v_and_or_b32 v26, v4, 7, v5
                                        ; implicit-def: $vgpr28
; %bb.147:
	s_andn2_saveexec_b64 s[0:1], s[0:1]
; %bb.148:
	v_mov_b32_e32 v26, v28
; %bb.149:
	s_or_b64 exec, exec, s[0:1]
.LBB0_150:
	s_or_b64 exec, exec, s[16:17]
.LBB0_151:
	s_andn2_saveexec_b64 s[0:1], s[14:15]
	s_or_b64 exec, exec, s[0:1]
                                        ; implicit-def: $vgpr29
                                        ; implicit-def: $vgpr4_vgpr5
.LBB0_152:
	s_andn2_saveexec_b64 s[0:1], s[8:9]
; %bb.153:
	s_movk_i32 s8, 0x7f
	v_or_b32_sdwa v28, v29, s8 dst_sel:DWORD dst_unused:UNUSED_PAD src0_sel:BYTE_3 src1_sel:DWORD
	v_cmp_eq_u64_e32 vcc, 0, v[4:5]
	v_cndmask_b32_e32 v26, v28, v26, vcc
; %bb.154:
	s_or_b64 exec, exec, s[0:1]
	v_mul_f32_e32 v4, v9, v27
	v_max_f32_e32 v4, 0xc3e00000, v4
	v_min_f32_e32 v29, 0x43e00000, v4
	v_mov_b32_e32 v5, 0
	s_movk_i32 s0, 0x80
	v_and_b32_sdwa v28, v29, s0 dst_sel:DWORD dst_unused:UNUSED_PAD src0_sel:BYTE_3 src1_sel:DWORD
	v_and_b32_e32 v30, 0x7f800000, v29
	v_mov_b32_e32 v31, v5
	s_mov_b64 s[0:1], 0x7f800000
	v_and_b32_e32 v4, 0x7fffff, v29
	v_or_b32_e32 v27, 0x7e, v28
	v_cmp_ne_u64_e32 vcc, s[0:1], v[30:31]
	s_and_saveexec_b64 s[0:1], vcc
	s_xor_b64 s[8:9], exec, s[0:1]
	s_cbranch_execz .LBB0_168
; %bb.155:
	v_and_b32_e32 v30, 0x7fffffff, v29
	v_mov_b32_e32 v31, v5
	s_mov_b64 s[0:1], 0x43e00001
	v_cmp_gt_u64_e32 vcc, s[0:1], v[30:31]
	s_and_saveexec_b64 s[0:1], vcc
	s_xor_b64 s[14:15], exec, s[0:1]
	s_cbranch_execz .LBB0_167
; %bb.156:
	v_cmp_ne_u32_e32 vcc, 0, v29
	v_mov_b32_e32 v27, 0
	s_and_saveexec_b64 s[16:17], vcc
	s_cbranch_execz .LBB0_166
; %bb.157:
	v_bfe_u32 v27, v29, 23, 8
	s_movk_i32 s0, 0x7a
	v_sub_u32_e32 v30, 0x79, v27
	v_cmp_gt_u32_e32 vcc, s0, v27
	v_add_u32_e32 v29, 0xffffff81, v27
	v_cndmask_b32_e32 v30, 0, v30, vcc
	v_mov_b32_e32 v32, 0xffffff82
	v_cmp_eq_u32_e32 vcc, 0, v27
	v_cndmask_b32_e32 v27, v29, v32, vcc
	v_mov_b32_e32 v29, 0x78
	v_cndmask_b32_e32 v29, v30, v29, vcc
	v_or_b32_e32 v31, 0x800000, v4
	v_add_u32_e32 v30, 20, v29
	v_cndmask_b32_e32 v4, v31, v4, vcc
	v_lshlrev_b64 v[30:31], v30, -1
	v_not_b32_e32 v30, v30
	v_and_b32_e32 v32, v4, v30
	v_add_u32_e32 v30, 19, v29
	v_lshrrev_b64 v[4:5], v29, v[4:5]
	v_not_b32_e32 v31, v31
	v_lshlrev_b64 v[34:35], v30, 1
	v_lshrrev_b32_e32 v30, 23, v4
	v_and_b32_e32 v33, 0, v31
	v_add3_u32 v30, v29, v27, v30
	v_bfe_u32 v29, v4, 20, 1
	v_add_u32_e32 v29, -1, v29
	v_cmp_eq_u64_e32 vcc, v[32:33], v[34:35]
	v_cndmask_b32_e32 v29, 0, v29, vcc
	v_add_u32_e32 v29, v29, v4
	v_and_b32_e32 v29, 0xfffff, v29
	v_add_co_u32_e32 v4, vcc, v29, v4
	v_add_u32_e32 v27, 6, v30
	v_addc_co_u32_e32 v5, vcc, 0, v5, vcc
	v_cmp_ne_u32_e32 vcc, 0, v27
                                        ; implicit-def: $vgpr29
	s_and_saveexec_b64 s[0:1], vcc
	s_xor_b64 s[0:1], exec, s[0:1]
; %bb.158:
	s_mov_b64 s[18:19], 0xffffff
	v_add_u32_e32 v29, 7, v30
	v_cmp_lt_u64_e32 vcc, s[18:19], v[4:5]
	v_cndmask_b32_e32 v29, v27, v29, vcc
	v_cndmask_b32_e64 v27, 0, 1, vcc
	v_lshrrev_b64 v[4:5], v27, v[4:5]
; %bb.159:
	s_andn2_saveexec_b64 s[0:1], s[0:1]
; %bb.160:
	v_bfe_u32 v29, v4, 23, 1
; %bb.161:
	s_or_b64 exec, exec, s[0:1]
	v_lshrrev_b64 v[4:5], 20, v[4:5]
	v_cmp_gt_i32_e32 vcc, 16, v29
	v_cndmask_b32_e32 v5, 0, v5, vcc
	v_cndmask_b32_e32 v4, 7, v4, vcc
	v_cmp_ne_u32_e32 vcc, 0, v29
	v_cmp_ne_u64_e64 s[0:1], 0, v[4:5]
	s_or_b64 s[0:1], vcc, s[0:1]
                                        ; implicit-def: $vgpr27
	s_and_saveexec_b64 s[18:19], s[0:1]
	s_xor_b64 s[0:1], exec, s[18:19]
; %bb.162:
	v_min_i32_e32 v5, 15, v29
	v_lshl_or_b32 v5, v5, 3, v28
	v_and_or_b32 v27, v4, 7, v5
                                        ; implicit-def: $vgpr28
; %bb.163:
	s_andn2_saveexec_b64 s[0:1], s[0:1]
; %bb.164:
	v_mov_b32_e32 v27, v28
; %bb.165:
	s_or_b64 exec, exec, s[0:1]
.LBB0_166:
	s_or_b64 exec, exec, s[16:17]
.LBB0_167:
	s_andn2_saveexec_b64 s[0:1], s[14:15]
	s_or_b64 exec, exec, s[0:1]
                                        ; implicit-def: $vgpr29
                                        ; implicit-def: $vgpr4_vgpr5
.LBB0_168:
	s_andn2_saveexec_b64 s[0:1], s[8:9]
; %bb.169:
	s_movk_i32 s8, 0x7f
	v_or_b32_sdwa v28, v29, s8 dst_sel:DWORD dst_unused:UNUSED_PAD src0_sel:BYTE_3 src1_sel:DWORD
	v_cmp_eq_u64_e32 vcc, 0, v[4:5]
	v_cndmask_b32_e32 v27, v28, v27, vcc
; %bb.170:
	s_or_b64 exec, exec, s[0:1]
	v_mul_f32_e32 v4, v9, v25
	v_max_f32_e32 v4, 0xc3e00000, v4
	v_min_f32_e32 v29, 0x43e00000, v4
	v_mov_b32_e32 v5, 0
	s_movk_i32 s0, 0x80
	v_and_b32_sdwa v28, v29, s0 dst_sel:DWORD dst_unused:UNUSED_PAD src0_sel:BYTE_3 src1_sel:DWORD
	v_and_b32_e32 v30, 0x7f800000, v29
	v_mov_b32_e32 v31, v5
	s_mov_b64 s[0:1], 0x7f800000
	v_and_b32_e32 v4, 0x7fffff, v29
	v_or_b32_e32 v25, 0x7e, v28
	v_cmp_ne_u64_e32 vcc, s[0:1], v[30:31]
	s_and_saveexec_b64 s[0:1], vcc
	s_xor_b64 s[8:9], exec, s[0:1]
	s_cbranch_execz .LBB0_184
; %bb.171:
	v_and_b32_e32 v30, 0x7fffffff, v29
	v_mov_b32_e32 v31, v5
	s_mov_b64 s[0:1], 0x43e00001
	v_cmp_gt_u64_e32 vcc, s[0:1], v[30:31]
	s_and_saveexec_b64 s[0:1], vcc
	s_xor_b64 s[14:15], exec, s[0:1]
	s_cbranch_execz .LBB0_183
; %bb.172:
	v_cmp_ne_u32_e32 vcc, 0, v29
	v_mov_b32_e32 v25, 0
	s_and_saveexec_b64 s[16:17], vcc
	s_cbranch_execz .LBB0_182
; %bb.173:
	v_bfe_u32 v25, v29, 23, 8
	s_movk_i32 s0, 0x7a
	v_sub_u32_e32 v30, 0x79, v25
	v_cmp_gt_u32_e32 vcc, s0, v25
	v_add_u32_e32 v29, 0xffffff81, v25
	v_cndmask_b32_e32 v30, 0, v30, vcc
	v_mov_b32_e32 v32, 0xffffff82
	v_cmp_eq_u32_e32 vcc, 0, v25
	v_cndmask_b32_e32 v25, v29, v32, vcc
	v_mov_b32_e32 v29, 0x78
	v_cndmask_b32_e32 v29, v30, v29, vcc
	v_or_b32_e32 v31, 0x800000, v4
	v_add_u32_e32 v30, 20, v29
	v_cndmask_b32_e32 v4, v31, v4, vcc
	v_lshlrev_b64 v[30:31], v30, -1
	v_not_b32_e32 v30, v30
	v_and_b32_e32 v32, v4, v30
	v_add_u32_e32 v30, 19, v29
	v_lshrrev_b64 v[4:5], v29, v[4:5]
	v_not_b32_e32 v31, v31
	v_lshlrev_b64 v[34:35], v30, 1
	v_lshrrev_b32_e32 v30, 23, v4
	v_and_b32_e32 v33, 0, v31
	v_add3_u32 v30, v29, v25, v30
	v_bfe_u32 v29, v4, 20, 1
	v_add_u32_e32 v29, -1, v29
	v_cmp_eq_u64_e32 vcc, v[32:33], v[34:35]
	v_cndmask_b32_e32 v29, 0, v29, vcc
	v_add_u32_e32 v29, v29, v4
	v_and_b32_e32 v29, 0xfffff, v29
	v_add_co_u32_e32 v4, vcc, v29, v4
	v_add_u32_e32 v25, 6, v30
	v_addc_co_u32_e32 v5, vcc, 0, v5, vcc
	v_cmp_ne_u32_e32 vcc, 0, v25
                                        ; implicit-def: $vgpr29
	s_and_saveexec_b64 s[0:1], vcc
	s_xor_b64 s[0:1], exec, s[0:1]
; %bb.174:
	s_mov_b64 s[18:19], 0xffffff
	v_add_u32_e32 v29, 7, v30
	v_cmp_lt_u64_e32 vcc, s[18:19], v[4:5]
	v_cndmask_b32_e32 v29, v25, v29, vcc
	v_cndmask_b32_e64 v25, 0, 1, vcc
	v_lshrrev_b64 v[4:5], v25, v[4:5]
; %bb.175:
	s_andn2_saveexec_b64 s[0:1], s[0:1]
; %bb.176:
	v_bfe_u32 v29, v4, 23, 1
; %bb.177:
	s_or_b64 exec, exec, s[0:1]
	v_lshrrev_b64 v[4:5], 20, v[4:5]
	v_cmp_gt_i32_e32 vcc, 16, v29
	v_cndmask_b32_e32 v5, 0, v5, vcc
	v_cndmask_b32_e32 v4, 7, v4, vcc
	v_cmp_ne_u32_e32 vcc, 0, v29
	v_cmp_ne_u64_e64 s[0:1], 0, v[4:5]
	s_or_b64 s[0:1], vcc, s[0:1]
                                        ; implicit-def: $vgpr25
	s_and_saveexec_b64 s[18:19], s[0:1]
	s_xor_b64 s[0:1], exec, s[18:19]
; %bb.178:
	v_min_i32_e32 v5, 15, v29
	v_lshl_or_b32 v5, v5, 3, v28
	v_and_or_b32 v25, v4, 7, v5
                                        ; implicit-def: $vgpr28
; %bb.179:
	s_andn2_saveexec_b64 s[0:1], s[0:1]
; %bb.180:
	v_mov_b32_e32 v25, v28
; %bb.181:
	s_or_b64 exec, exec, s[0:1]
.LBB0_182:
	s_or_b64 exec, exec, s[16:17]
.LBB0_183:
	s_andn2_saveexec_b64 s[0:1], s[14:15]
	s_or_b64 exec, exec, s[0:1]
                                        ; implicit-def: $vgpr29
                                        ; implicit-def: $vgpr4_vgpr5
.LBB0_184:
	s_andn2_saveexec_b64 s[0:1], s[8:9]
; %bb.185:
	s_movk_i32 s8, 0x7f
	v_or_b32_sdwa v28, v29, s8 dst_sel:DWORD dst_unused:UNUSED_PAD src0_sel:BYTE_3 src1_sel:DWORD
	v_cmp_eq_u64_e32 vcc, 0, v[4:5]
	v_cndmask_b32_e32 v25, v28, v25, vcc
; %bb.186:
	s_or_b64 exec, exec, s[0:1]
	v_mul_f32_e32 v4, v9, v23
	v_max_f32_e32 v4, 0xc3e00000, v4
	v_min_f32_e32 v29, 0x43e00000, v4
	v_mov_b32_e32 v5, 0
	s_movk_i32 s0, 0x80
	v_and_b32_sdwa v28, v29, s0 dst_sel:DWORD dst_unused:UNUSED_PAD src0_sel:BYTE_3 src1_sel:DWORD
	v_and_b32_e32 v30, 0x7f800000, v29
	v_mov_b32_e32 v31, v5
	s_mov_b64 s[0:1], 0x7f800000
	v_and_b32_e32 v4, 0x7fffff, v29
	v_or_b32_e32 v23, 0x7e, v28
	v_cmp_ne_u64_e32 vcc, s[0:1], v[30:31]
	s_and_saveexec_b64 s[0:1], vcc
	s_xor_b64 s[8:9], exec, s[0:1]
	s_cbranch_execz .LBB0_200
; %bb.187:
	v_and_b32_e32 v30, 0x7fffffff, v29
	v_mov_b32_e32 v31, v5
	s_mov_b64 s[0:1], 0x43e00001
	v_cmp_gt_u64_e32 vcc, s[0:1], v[30:31]
	s_and_saveexec_b64 s[0:1], vcc
	s_xor_b64 s[14:15], exec, s[0:1]
	s_cbranch_execz .LBB0_199
; %bb.188:
	v_cmp_ne_u32_e32 vcc, 0, v29
	v_mov_b32_e32 v23, 0
	s_and_saveexec_b64 s[16:17], vcc
	s_cbranch_execz .LBB0_198
; %bb.189:
	v_bfe_u32 v23, v29, 23, 8
	s_movk_i32 s0, 0x7a
	v_sub_u32_e32 v30, 0x79, v23
	v_cmp_gt_u32_e32 vcc, s0, v23
	v_add_u32_e32 v29, 0xffffff81, v23
	v_cndmask_b32_e32 v30, 0, v30, vcc
	v_mov_b32_e32 v32, 0xffffff82
	v_cmp_eq_u32_e32 vcc, 0, v23
	v_cndmask_b32_e32 v23, v29, v32, vcc
	v_mov_b32_e32 v29, 0x78
	v_cndmask_b32_e32 v29, v30, v29, vcc
	v_or_b32_e32 v31, 0x800000, v4
	v_add_u32_e32 v30, 20, v29
	v_cndmask_b32_e32 v4, v31, v4, vcc
	v_lshlrev_b64 v[30:31], v30, -1
	v_not_b32_e32 v30, v30
	v_and_b32_e32 v32, v4, v30
	v_add_u32_e32 v30, 19, v29
	v_lshrrev_b64 v[4:5], v29, v[4:5]
	v_not_b32_e32 v31, v31
	v_lshlrev_b64 v[34:35], v30, 1
	v_lshrrev_b32_e32 v30, 23, v4
	v_and_b32_e32 v33, 0, v31
	v_add3_u32 v30, v29, v23, v30
	v_bfe_u32 v29, v4, 20, 1
	v_add_u32_e32 v29, -1, v29
	v_cmp_eq_u64_e32 vcc, v[32:33], v[34:35]
	v_cndmask_b32_e32 v29, 0, v29, vcc
	v_add_u32_e32 v29, v29, v4
	v_and_b32_e32 v29, 0xfffff, v29
	v_add_co_u32_e32 v4, vcc, v29, v4
	v_add_u32_e32 v23, 6, v30
	v_addc_co_u32_e32 v5, vcc, 0, v5, vcc
	v_cmp_ne_u32_e32 vcc, 0, v23
                                        ; implicit-def: $vgpr29
	s_and_saveexec_b64 s[0:1], vcc
	s_xor_b64 s[0:1], exec, s[0:1]
; %bb.190:
	s_mov_b64 s[18:19], 0xffffff
	v_add_u32_e32 v29, 7, v30
	v_cmp_lt_u64_e32 vcc, s[18:19], v[4:5]
	v_cndmask_b32_e32 v29, v23, v29, vcc
	v_cndmask_b32_e64 v23, 0, 1, vcc
	v_lshrrev_b64 v[4:5], v23, v[4:5]
; %bb.191:
	s_andn2_saveexec_b64 s[0:1], s[0:1]
; %bb.192:
	v_bfe_u32 v29, v4, 23, 1
; %bb.193:
	s_or_b64 exec, exec, s[0:1]
	v_lshrrev_b64 v[4:5], 20, v[4:5]
	v_cmp_gt_i32_e32 vcc, 16, v29
	v_cndmask_b32_e32 v5, 0, v5, vcc
	v_cndmask_b32_e32 v4, 7, v4, vcc
	v_cmp_ne_u32_e32 vcc, 0, v29
	v_cmp_ne_u64_e64 s[0:1], 0, v[4:5]
	s_or_b64 s[0:1], vcc, s[0:1]
                                        ; implicit-def: $vgpr23
	s_and_saveexec_b64 s[18:19], s[0:1]
	s_xor_b64 s[0:1], exec, s[18:19]
; %bb.194:
	v_min_i32_e32 v5, 15, v29
	v_lshl_or_b32 v5, v5, 3, v28
	v_and_or_b32 v23, v4, 7, v5
                                        ; implicit-def: $vgpr28
; %bb.195:
	s_andn2_saveexec_b64 s[0:1], s[0:1]
; %bb.196:
	v_mov_b32_e32 v23, v28
; %bb.197:
	s_or_b64 exec, exec, s[0:1]
.LBB0_198:
	s_or_b64 exec, exec, s[16:17]
.LBB0_199:
	s_andn2_saveexec_b64 s[0:1], s[14:15]
	s_or_b64 exec, exec, s[0:1]
                                        ; implicit-def: $vgpr29
                                        ; implicit-def: $vgpr4_vgpr5
.LBB0_200:
	s_andn2_saveexec_b64 s[0:1], s[8:9]
; %bb.201:
	s_movk_i32 s8, 0x7f
	v_or_b32_sdwa v28, v29, s8 dst_sel:DWORD dst_unused:UNUSED_PAD src0_sel:BYTE_3 src1_sel:DWORD
	v_cmp_eq_u64_e32 vcc, 0, v[4:5]
	v_cndmask_b32_e32 v23, v28, v23, vcc
; %bb.202:
	s_or_b64 exec, exec, s[0:1]
	v_mul_f32_e32 v4, v9, v22
	v_max_f32_e32 v4, 0xc3e00000, v4
	v_min_f32_e32 v29, 0x43e00000, v4
	v_mov_b32_e32 v5, 0
	s_movk_i32 s0, 0x80
	v_and_b32_sdwa v28, v29, s0 dst_sel:DWORD dst_unused:UNUSED_PAD src0_sel:BYTE_3 src1_sel:DWORD
	v_and_b32_e32 v30, 0x7f800000, v29
	v_mov_b32_e32 v31, v5
	s_mov_b64 s[0:1], 0x7f800000
	v_and_b32_e32 v4, 0x7fffff, v29
	v_or_b32_e32 v22, 0x7e, v28
	v_cmp_ne_u64_e32 vcc, s[0:1], v[30:31]
	s_and_saveexec_b64 s[0:1], vcc
	s_xor_b64 s[8:9], exec, s[0:1]
	s_cbranch_execz .LBB0_216
; %bb.203:
	v_and_b32_e32 v30, 0x7fffffff, v29
	v_mov_b32_e32 v31, v5
	s_mov_b64 s[0:1], 0x43e00001
	v_cmp_gt_u64_e32 vcc, s[0:1], v[30:31]
	s_and_saveexec_b64 s[0:1], vcc
	s_xor_b64 s[14:15], exec, s[0:1]
	s_cbranch_execz .LBB0_215
; %bb.204:
	v_cmp_ne_u32_e32 vcc, 0, v29
	v_mov_b32_e32 v22, 0
	s_and_saveexec_b64 s[16:17], vcc
	s_cbranch_execz .LBB0_214
; %bb.205:
	v_bfe_u32 v22, v29, 23, 8
	s_movk_i32 s0, 0x7a
	v_sub_u32_e32 v30, 0x79, v22
	v_cmp_gt_u32_e32 vcc, s0, v22
	v_add_u32_e32 v29, 0xffffff81, v22
	v_cndmask_b32_e32 v30, 0, v30, vcc
	v_mov_b32_e32 v32, 0xffffff82
	v_cmp_eq_u32_e32 vcc, 0, v22
	v_cndmask_b32_e32 v22, v29, v32, vcc
	v_mov_b32_e32 v29, 0x78
	v_cndmask_b32_e32 v29, v30, v29, vcc
	v_or_b32_e32 v31, 0x800000, v4
	v_add_u32_e32 v30, 20, v29
	v_cndmask_b32_e32 v4, v31, v4, vcc
	v_lshlrev_b64 v[30:31], v30, -1
	v_not_b32_e32 v30, v30
	v_and_b32_e32 v32, v4, v30
	v_add_u32_e32 v30, 19, v29
	v_lshrrev_b64 v[4:5], v29, v[4:5]
	v_not_b32_e32 v31, v31
	v_lshlrev_b64 v[34:35], v30, 1
	v_lshrrev_b32_e32 v30, 23, v4
	v_and_b32_e32 v33, 0, v31
	v_add3_u32 v30, v29, v22, v30
	v_bfe_u32 v29, v4, 20, 1
	v_add_u32_e32 v29, -1, v29
	v_cmp_eq_u64_e32 vcc, v[32:33], v[34:35]
	v_cndmask_b32_e32 v29, 0, v29, vcc
	v_add_u32_e32 v29, v29, v4
	v_and_b32_e32 v29, 0xfffff, v29
	v_add_co_u32_e32 v4, vcc, v29, v4
	v_add_u32_e32 v22, 6, v30
	v_addc_co_u32_e32 v5, vcc, 0, v5, vcc
	v_cmp_ne_u32_e32 vcc, 0, v22
                                        ; implicit-def: $vgpr29
	s_and_saveexec_b64 s[0:1], vcc
	s_xor_b64 s[0:1], exec, s[0:1]
; %bb.206:
	s_mov_b64 s[18:19], 0xffffff
	v_add_u32_e32 v29, 7, v30
	v_cmp_lt_u64_e32 vcc, s[18:19], v[4:5]
	v_cndmask_b32_e32 v29, v22, v29, vcc
	v_cndmask_b32_e64 v22, 0, 1, vcc
	v_lshrrev_b64 v[4:5], v22, v[4:5]
; %bb.207:
	s_andn2_saveexec_b64 s[0:1], s[0:1]
; %bb.208:
	v_bfe_u32 v29, v4, 23, 1
; %bb.209:
	s_or_b64 exec, exec, s[0:1]
	v_lshrrev_b64 v[4:5], 20, v[4:5]
	v_cmp_gt_i32_e32 vcc, 16, v29
	v_cndmask_b32_e32 v5, 0, v5, vcc
	v_cndmask_b32_e32 v4, 7, v4, vcc
	v_cmp_ne_u32_e32 vcc, 0, v29
	v_cmp_ne_u64_e64 s[0:1], 0, v[4:5]
	s_or_b64 s[0:1], vcc, s[0:1]
                                        ; implicit-def: $vgpr22
	s_and_saveexec_b64 s[18:19], s[0:1]
	s_xor_b64 s[0:1], exec, s[18:19]
; %bb.210:
	v_min_i32_e32 v5, 15, v29
	v_lshl_or_b32 v5, v5, 3, v28
	v_and_or_b32 v22, v4, 7, v5
                                        ; implicit-def: $vgpr28
; %bb.211:
	s_andn2_saveexec_b64 s[0:1], s[0:1]
; %bb.212:
	v_mov_b32_e32 v22, v28
; %bb.213:
	s_or_b64 exec, exec, s[0:1]
.LBB0_214:
	s_or_b64 exec, exec, s[16:17]
.LBB0_215:
	s_andn2_saveexec_b64 s[0:1], s[14:15]
	s_or_b64 exec, exec, s[0:1]
                                        ; implicit-def: $vgpr29
                                        ; implicit-def: $vgpr4_vgpr5
.LBB0_216:
	s_andn2_saveexec_b64 s[0:1], s[8:9]
; %bb.217:
	s_movk_i32 s8, 0x7f
	v_or_b32_sdwa v28, v29, s8 dst_sel:DWORD dst_unused:UNUSED_PAD src0_sel:BYTE_3 src1_sel:DWORD
	v_cmp_eq_u64_e32 vcc, 0, v[4:5]
	v_cndmask_b32_e32 v22, v28, v22, vcc
; %bb.218:
	s_or_b64 exec, exec, s[0:1]
	v_mul_f32_e32 v4, v9, v15
	v_max_f32_e32 v4, 0xc3e00000, v4
	v_min_f32_e32 v29, 0x43e00000, v4
	v_mov_b32_e32 v5, 0
	s_movk_i32 s0, 0x80
	v_and_b32_sdwa v28, v29, s0 dst_sel:DWORD dst_unused:UNUSED_PAD src0_sel:BYTE_3 src1_sel:DWORD
	v_and_b32_e32 v30, 0x7f800000, v29
	v_mov_b32_e32 v31, v5
	s_mov_b64 s[0:1], 0x7f800000
	v_and_b32_e32 v4, 0x7fffff, v29
	v_or_b32_e32 v15, 0x7e, v28
	v_cmp_ne_u64_e32 vcc, s[0:1], v[30:31]
	s_and_saveexec_b64 s[0:1], vcc
	s_xor_b64 s[8:9], exec, s[0:1]
	s_cbranch_execz .LBB0_232
; %bb.219:
	v_and_b32_e32 v30, 0x7fffffff, v29
	v_mov_b32_e32 v31, v5
	s_mov_b64 s[0:1], 0x43e00001
	v_cmp_gt_u64_e32 vcc, s[0:1], v[30:31]
	s_and_saveexec_b64 s[0:1], vcc
	s_xor_b64 s[14:15], exec, s[0:1]
	s_cbranch_execz .LBB0_231
; %bb.220:
	v_cmp_ne_u32_e32 vcc, 0, v29
	v_mov_b32_e32 v15, 0
	s_and_saveexec_b64 s[16:17], vcc
	s_cbranch_execz .LBB0_230
; %bb.221:
	v_bfe_u32 v15, v29, 23, 8
	s_movk_i32 s0, 0x7a
	v_sub_u32_e32 v30, 0x79, v15
	v_cmp_gt_u32_e32 vcc, s0, v15
	v_add_u32_e32 v29, 0xffffff81, v15
	v_cndmask_b32_e32 v30, 0, v30, vcc
	v_mov_b32_e32 v32, 0xffffff82
	v_cmp_eq_u32_e32 vcc, 0, v15
	v_cndmask_b32_e32 v15, v29, v32, vcc
	v_mov_b32_e32 v29, 0x78
	v_cndmask_b32_e32 v29, v30, v29, vcc
	v_or_b32_e32 v31, 0x800000, v4
	v_add_u32_e32 v30, 20, v29
	v_cndmask_b32_e32 v4, v31, v4, vcc
	v_lshlrev_b64 v[30:31], v30, -1
	v_not_b32_e32 v30, v30
	v_and_b32_e32 v32, v4, v30
	v_add_u32_e32 v30, 19, v29
	v_lshrrev_b64 v[4:5], v29, v[4:5]
	v_not_b32_e32 v31, v31
	v_lshlrev_b64 v[34:35], v30, 1
	v_lshrrev_b32_e32 v30, 23, v4
	v_and_b32_e32 v33, 0, v31
	v_add3_u32 v30, v29, v15, v30
	v_bfe_u32 v29, v4, 20, 1
	v_add_u32_e32 v29, -1, v29
	v_cmp_eq_u64_e32 vcc, v[32:33], v[34:35]
	v_cndmask_b32_e32 v29, 0, v29, vcc
	v_add_u32_e32 v29, v29, v4
	v_and_b32_e32 v29, 0xfffff, v29
	v_add_co_u32_e32 v4, vcc, v29, v4
	v_add_u32_e32 v15, 6, v30
	v_addc_co_u32_e32 v5, vcc, 0, v5, vcc
	v_cmp_ne_u32_e32 vcc, 0, v15
                                        ; implicit-def: $vgpr29
	s_and_saveexec_b64 s[0:1], vcc
	s_xor_b64 s[0:1], exec, s[0:1]
; %bb.222:
	s_mov_b64 s[18:19], 0xffffff
	v_add_u32_e32 v29, 7, v30
	v_cmp_lt_u64_e32 vcc, s[18:19], v[4:5]
	v_cndmask_b32_e32 v29, v15, v29, vcc
	v_cndmask_b32_e64 v15, 0, 1, vcc
	v_lshrrev_b64 v[4:5], v15, v[4:5]
; %bb.223:
	s_andn2_saveexec_b64 s[0:1], s[0:1]
; %bb.224:
	v_bfe_u32 v29, v4, 23, 1
; %bb.225:
	s_or_b64 exec, exec, s[0:1]
	v_lshrrev_b64 v[4:5], 20, v[4:5]
	v_cmp_gt_i32_e32 vcc, 16, v29
	v_cndmask_b32_e32 v5, 0, v5, vcc
	v_cndmask_b32_e32 v4, 7, v4, vcc
	v_cmp_ne_u32_e32 vcc, 0, v29
	v_cmp_ne_u64_e64 s[0:1], 0, v[4:5]
	s_or_b64 s[0:1], vcc, s[0:1]
                                        ; implicit-def: $vgpr15
	s_and_saveexec_b64 s[18:19], s[0:1]
	s_xor_b64 s[0:1], exec, s[18:19]
; %bb.226:
	v_min_i32_e32 v5, 15, v29
	v_lshl_or_b32 v5, v5, 3, v28
	v_and_or_b32 v15, v4, 7, v5
                                        ; implicit-def: $vgpr28
; %bb.227:
	s_andn2_saveexec_b64 s[0:1], s[0:1]
; %bb.228:
	v_mov_b32_e32 v15, v28
; %bb.229:
	s_or_b64 exec, exec, s[0:1]
.LBB0_230:
	s_or_b64 exec, exec, s[16:17]
.LBB0_231:
	s_andn2_saveexec_b64 s[0:1], s[14:15]
	s_or_b64 exec, exec, s[0:1]
                                        ; implicit-def: $vgpr29
                                        ; implicit-def: $vgpr4_vgpr5
.LBB0_232:
	s_andn2_saveexec_b64 s[0:1], s[8:9]
; %bb.233:
	s_movk_i32 s8, 0x7f
	v_or_b32_sdwa v28, v29, s8 dst_sel:DWORD dst_unused:UNUSED_PAD src0_sel:BYTE_3 src1_sel:DWORD
	v_cmp_eq_u64_e32 vcc, 0, v[4:5]
	v_cndmask_b32_e32 v15, v28, v15, vcc
; %bb.234:
	s_or_b64 exec, exec, s[0:1]
	v_mul_f32_e32 v4, v9, v13
	v_max_f32_e32 v4, 0xc3e00000, v4
	v_min_f32_e32 v29, 0x43e00000, v4
	v_mov_b32_e32 v5, 0
	s_movk_i32 s0, 0x80
	v_and_b32_sdwa v28, v29, s0 dst_sel:DWORD dst_unused:UNUSED_PAD src0_sel:BYTE_3 src1_sel:DWORD
	v_and_b32_e32 v30, 0x7f800000, v29
	v_mov_b32_e32 v31, v5
	s_mov_b64 s[0:1], 0x7f800000
	v_and_b32_e32 v4, 0x7fffff, v29
	v_or_b32_e32 v13, 0x7e, v28
	v_cmp_ne_u64_e32 vcc, s[0:1], v[30:31]
	s_and_saveexec_b64 s[0:1], vcc
	s_xor_b64 s[8:9], exec, s[0:1]
	s_cbranch_execz .LBB0_248
; %bb.235:
	v_and_b32_e32 v30, 0x7fffffff, v29
	v_mov_b32_e32 v31, v5
	s_mov_b64 s[0:1], 0x43e00001
	v_cmp_gt_u64_e32 vcc, s[0:1], v[30:31]
	s_and_saveexec_b64 s[0:1], vcc
	s_xor_b64 s[14:15], exec, s[0:1]
	s_cbranch_execz .LBB0_247
; %bb.236:
	v_cmp_ne_u32_e32 vcc, 0, v29
	v_mov_b32_e32 v13, 0
	s_and_saveexec_b64 s[16:17], vcc
	s_cbranch_execz .LBB0_246
; %bb.237:
	v_bfe_u32 v13, v29, 23, 8
	s_movk_i32 s0, 0x7a
	v_sub_u32_e32 v30, 0x79, v13
	v_cmp_gt_u32_e32 vcc, s0, v13
	v_add_u32_e32 v29, 0xffffff81, v13
	v_cndmask_b32_e32 v30, 0, v30, vcc
	v_mov_b32_e32 v32, 0xffffff82
	v_cmp_eq_u32_e32 vcc, 0, v13
	v_cndmask_b32_e32 v13, v29, v32, vcc
	v_mov_b32_e32 v29, 0x78
	v_cndmask_b32_e32 v29, v30, v29, vcc
	v_or_b32_e32 v31, 0x800000, v4
	v_add_u32_e32 v30, 20, v29
	v_cndmask_b32_e32 v4, v31, v4, vcc
	v_lshlrev_b64 v[30:31], v30, -1
	v_not_b32_e32 v30, v30
	v_and_b32_e32 v32, v4, v30
	v_add_u32_e32 v30, 19, v29
	v_lshrrev_b64 v[4:5], v29, v[4:5]
	v_not_b32_e32 v31, v31
	v_lshlrev_b64 v[34:35], v30, 1
	v_lshrrev_b32_e32 v30, 23, v4
	v_and_b32_e32 v33, 0, v31
	v_add3_u32 v30, v29, v13, v30
	v_bfe_u32 v29, v4, 20, 1
	v_add_u32_e32 v29, -1, v29
	v_cmp_eq_u64_e32 vcc, v[32:33], v[34:35]
	v_cndmask_b32_e32 v29, 0, v29, vcc
	v_add_u32_e32 v29, v29, v4
	v_and_b32_e32 v29, 0xfffff, v29
	v_add_co_u32_e32 v4, vcc, v29, v4
	v_add_u32_e32 v13, 6, v30
	v_addc_co_u32_e32 v5, vcc, 0, v5, vcc
	v_cmp_ne_u32_e32 vcc, 0, v13
                                        ; implicit-def: $vgpr29
	s_and_saveexec_b64 s[0:1], vcc
	s_xor_b64 s[0:1], exec, s[0:1]
; %bb.238:
	s_mov_b64 s[18:19], 0xffffff
	v_add_u32_e32 v29, 7, v30
	v_cmp_lt_u64_e32 vcc, s[18:19], v[4:5]
	v_cndmask_b32_e32 v29, v13, v29, vcc
	v_cndmask_b32_e64 v13, 0, 1, vcc
	v_lshrrev_b64 v[4:5], v13, v[4:5]
; %bb.239:
	s_andn2_saveexec_b64 s[0:1], s[0:1]
; %bb.240:
	v_bfe_u32 v29, v4, 23, 1
; %bb.241:
	s_or_b64 exec, exec, s[0:1]
	v_lshrrev_b64 v[4:5], 20, v[4:5]
	v_cmp_gt_i32_e32 vcc, 16, v29
	v_cndmask_b32_e32 v5, 0, v5, vcc
	v_cndmask_b32_e32 v4, 7, v4, vcc
	v_cmp_ne_u32_e32 vcc, 0, v29
	v_cmp_ne_u64_e64 s[0:1], 0, v[4:5]
	s_or_b64 s[0:1], vcc, s[0:1]
                                        ; implicit-def: $vgpr13
	s_and_saveexec_b64 s[18:19], s[0:1]
	s_xor_b64 s[0:1], exec, s[18:19]
; %bb.242:
	v_min_i32_e32 v5, 15, v29
	v_lshl_or_b32 v5, v5, 3, v28
	v_and_or_b32 v13, v4, 7, v5
                                        ; implicit-def: $vgpr28
; %bb.243:
	s_andn2_saveexec_b64 s[0:1], s[0:1]
; %bb.244:
	v_mov_b32_e32 v13, v28
; %bb.245:
	s_or_b64 exec, exec, s[0:1]
.LBB0_246:
	s_or_b64 exec, exec, s[16:17]
.LBB0_247:
	s_andn2_saveexec_b64 s[0:1], s[14:15]
	s_or_b64 exec, exec, s[0:1]
                                        ; implicit-def: $vgpr29
                                        ; implicit-def: $vgpr4_vgpr5
.LBB0_248:
	s_andn2_saveexec_b64 s[0:1], s[8:9]
; %bb.249:
	s_movk_i32 s8, 0x7f
	v_or_b32_sdwa v28, v29, s8 dst_sel:DWORD dst_unused:UNUSED_PAD src0_sel:BYTE_3 src1_sel:DWORD
	v_cmp_eq_u64_e32 vcc, 0, v[4:5]
	v_cndmask_b32_e32 v13, v28, v13, vcc
; %bb.250:
	s_or_b64 exec, exec, s[0:1]
	v_mul_f32_e32 v4, v9, v11
	v_max_f32_e32 v4, 0xc3e00000, v4
	v_min_f32_e32 v29, 0x43e00000, v4
	v_mov_b32_e32 v5, 0
	s_movk_i32 s0, 0x80
	v_and_b32_sdwa v28, v29, s0 dst_sel:DWORD dst_unused:UNUSED_PAD src0_sel:BYTE_3 src1_sel:DWORD
	v_and_b32_e32 v30, 0x7f800000, v29
	v_mov_b32_e32 v31, v5
	s_mov_b64 s[0:1], 0x7f800000
	v_and_b32_e32 v4, 0x7fffff, v29
	v_or_b32_e32 v11, 0x7e, v28
	v_cmp_ne_u64_e32 vcc, s[0:1], v[30:31]
	s_and_saveexec_b64 s[0:1], vcc
	s_xor_b64 s[8:9], exec, s[0:1]
	s_cbranch_execz .LBB0_264
; %bb.251:
	v_and_b32_e32 v30, 0x7fffffff, v29
	v_mov_b32_e32 v31, v5
	s_mov_b64 s[0:1], 0x43e00001
	v_cmp_gt_u64_e32 vcc, s[0:1], v[30:31]
	s_and_saveexec_b64 s[0:1], vcc
	s_xor_b64 s[14:15], exec, s[0:1]
	s_cbranch_execz .LBB0_263
; %bb.252:
	v_cmp_ne_u32_e32 vcc, 0, v29
	v_mov_b32_e32 v11, 0
	s_and_saveexec_b64 s[16:17], vcc
	s_cbranch_execz .LBB0_262
; %bb.253:
	v_bfe_u32 v11, v29, 23, 8
	s_movk_i32 s0, 0x7a
	v_sub_u32_e32 v30, 0x79, v11
	v_cmp_gt_u32_e32 vcc, s0, v11
	v_add_u32_e32 v29, 0xffffff81, v11
	v_cndmask_b32_e32 v30, 0, v30, vcc
	v_mov_b32_e32 v32, 0xffffff82
	v_cmp_eq_u32_e32 vcc, 0, v11
	v_cndmask_b32_e32 v11, v29, v32, vcc
	v_mov_b32_e32 v29, 0x78
	v_cndmask_b32_e32 v29, v30, v29, vcc
	v_or_b32_e32 v31, 0x800000, v4
	v_add_u32_e32 v30, 20, v29
	v_cndmask_b32_e32 v4, v31, v4, vcc
	v_lshlrev_b64 v[30:31], v30, -1
	v_not_b32_e32 v30, v30
	v_and_b32_e32 v32, v4, v30
	v_add_u32_e32 v30, 19, v29
	v_lshrrev_b64 v[4:5], v29, v[4:5]
	v_not_b32_e32 v31, v31
	v_lshlrev_b64 v[34:35], v30, 1
	v_lshrrev_b32_e32 v30, 23, v4
	v_and_b32_e32 v33, 0, v31
	v_add3_u32 v30, v29, v11, v30
	v_bfe_u32 v29, v4, 20, 1
	v_add_u32_e32 v29, -1, v29
	v_cmp_eq_u64_e32 vcc, v[32:33], v[34:35]
	v_cndmask_b32_e32 v29, 0, v29, vcc
	v_add_u32_e32 v29, v29, v4
	v_and_b32_e32 v29, 0xfffff, v29
	v_add_co_u32_e32 v4, vcc, v29, v4
	v_add_u32_e32 v11, 6, v30
	v_addc_co_u32_e32 v5, vcc, 0, v5, vcc
	v_cmp_ne_u32_e32 vcc, 0, v11
                                        ; implicit-def: $vgpr29
	s_and_saveexec_b64 s[0:1], vcc
	s_xor_b64 s[0:1], exec, s[0:1]
; %bb.254:
	s_mov_b64 s[18:19], 0xffffff
	v_add_u32_e32 v29, 7, v30
	v_cmp_lt_u64_e32 vcc, s[18:19], v[4:5]
	v_cndmask_b32_e32 v29, v11, v29, vcc
	v_cndmask_b32_e64 v11, 0, 1, vcc
	v_lshrrev_b64 v[4:5], v11, v[4:5]
; %bb.255:
	s_andn2_saveexec_b64 s[0:1], s[0:1]
; %bb.256:
	v_bfe_u32 v29, v4, 23, 1
; %bb.257:
	s_or_b64 exec, exec, s[0:1]
	v_lshrrev_b64 v[4:5], 20, v[4:5]
	v_cmp_gt_i32_e32 vcc, 16, v29
	v_cndmask_b32_e32 v5, 0, v5, vcc
	v_cndmask_b32_e32 v4, 7, v4, vcc
	v_cmp_ne_u32_e32 vcc, 0, v29
	v_cmp_ne_u64_e64 s[0:1], 0, v[4:5]
	s_or_b64 s[0:1], vcc, s[0:1]
                                        ; implicit-def: $vgpr11
	s_and_saveexec_b64 s[18:19], s[0:1]
	s_xor_b64 s[0:1], exec, s[18:19]
; %bb.258:
	v_min_i32_e32 v5, 15, v29
	v_lshl_or_b32 v5, v5, 3, v28
	v_and_or_b32 v11, v4, 7, v5
                                        ; implicit-def: $vgpr28
; %bb.259:
	s_andn2_saveexec_b64 s[0:1], s[0:1]
; %bb.260:
	v_mov_b32_e32 v11, v28
; %bb.261:
	s_or_b64 exec, exec, s[0:1]
.LBB0_262:
	s_or_b64 exec, exec, s[16:17]
.LBB0_263:
	s_andn2_saveexec_b64 s[0:1], s[14:15]
	s_or_b64 exec, exec, s[0:1]
                                        ; implicit-def: $vgpr29
                                        ; implicit-def: $vgpr4_vgpr5
.LBB0_264:
	s_andn2_saveexec_b64 s[0:1], s[8:9]
; %bb.265:
	s_movk_i32 s8, 0x7f
	v_or_b32_sdwa v28, v29, s8 dst_sel:DWORD dst_unused:UNUSED_PAD src0_sel:BYTE_3 src1_sel:DWORD
	v_cmp_eq_u64_e32 vcc, 0, v[4:5]
	v_cndmask_b32_e32 v11, v28, v11, vcc
; %bb.266:
	s_or_b64 exec, exec, s[0:1]
	v_mul_f32_e32 v4, v9, v8
	v_max_f32_e32 v4, 0xc3e00000, v4
	v_min_f32_e32 v28, 0x43e00000, v4
	v_mov_b32_e32 v5, 0
	s_movk_i32 s0, 0x80
	v_and_b32_sdwa v8, v28, s0 dst_sel:DWORD dst_unused:UNUSED_PAD src0_sel:BYTE_3 src1_sel:DWORD
	v_and_b32_e32 v30, 0x7f800000, v28
	v_mov_b32_e32 v31, v5
	s_mov_b64 s[0:1], 0x7f800000
	v_and_b32_e32 v4, 0x7fffff, v28
	v_or_b32_e32 v9, 0x7e, v8
	v_cmp_ne_u64_e32 vcc, s[0:1], v[30:31]
	s_and_saveexec_b64 s[0:1], vcc
	s_xor_b64 s[8:9], exec, s[0:1]
	s_cbranch_execz .LBB0_280
; %bb.267:
	v_and_b32_e32 v30, 0x7fffffff, v28
	v_mov_b32_e32 v31, v5
	s_mov_b64 s[0:1], 0x43e00001
	v_cmp_gt_u64_e32 vcc, s[0:1], v[30:31]
	s_and_saveexec_b64 s[0:1], vcc
	s_xor_b64 s[14:15], exec, s[0:1]
	s_cbranch_execz .LBB0_279
; %bb.268:
	v_cmp_ne_u32_e32 vcc, 0, v28
	v_mov_b32_e32 v9, 0
	s_and_saveexec_b64 s[16:17], vcc
	s_cbranch_execz .LBB0_278
; %bb.269:
	v_bfe_u32 v9, v28, 23, 8
	s_movk_i32 s0, 0x7a
	v_sub_u32_e32 v29, 0x79, v9
	v_cmp_gt_u32_e32 vcc, s0, v9
	v_add_u32_e32 v28, 0xffffff81, v9
	v_cndmask_b32_e32 v29, 0, v29, vcc
	v_mov_b32_e32 v31, 0xffffff82
	v_cmp_eq_u32_e32 vcc, 0, v9
	v_cndmask_b32_e32 v9, v28, v31, vcc
	v_mov_b32_e32 v28, 0x78
	v_cndmask_b32_e32 v34, v29, v28, vcc
	v_add_u32_e32 v28, 20, v34
	v_or_b32_e32 v30, 0x800000, v4
	v_lshlrev_b64 v[28:29], v28, -1
	v_cndmask_b32_e32 v4, v30, v4, vcc
	v_not_b32_e32 v28, v28
	v_and_b32_e32 v30, v4, v28
	v_add_u32_e32 v28, 19, v34
	v_lshrrev_b64 v[4:5], v34, v[4:5]
	v_not_b32_e32 v29, v29
	v_lshlrev_b64 v[32:33], v28, 1
	v_lshrrev_b32_e32 v28, 23, v4
	v_and_b32_e32 v31, 0, v29
	v_add3_u32 v29, v34, v9, v28
	v_bfe_u32 v28, v4, 20, 1
	v_add_u32_e32 v28, -1, v28
	v_cmp_eq_u64_e32 vcc, v[30:31], v[32:33]
	v_cndmask_b32_e32 v28, 0, v28, vcc
	v_add_u32_e32 v28, v28, v4
	v_and_b32_e32 v28, 0xfffff, v28
	v_add_co_u32_e32 v4, vcc, v28, v4
	v_add_u32_e32 v9, 6, v29
	v_addc_co_u32_e32 v5, vcc, 0, v5, vcc
	v_cmp_ne_u32_e32 vcc, 0, v9
                                        ; implicit-def: $vgpr28
	s_and_saveexec_b64 s[0:1], vcc
	s_xor_b64 s[0:1], exec, s[0:1]
; %bb.270:
	s_mov_b64 s[18:19], 0xffffff
	v_add_u32_e32 v28, 7, v29
	v_cmp_lt_u64_e32 vcc, s[18:19], v[4:5]
	v_cndmask_b32_e32 v28, v9, v28, vcc
	v_cndmask_b32_e64 v9, 0, 1, vcc
	v_lshrrev_b64 v[4:5], v9, v[4:5]
; %bb.271:
	s_andn2_saveexec_b64 s[0:1], s[0:1]
; %bb.272:
	v_bfe_u32 v28, v4, 23, 1
; %bb.273:
	s_or_b64 exec, exec, s[0:1]
	v_lshrrev_b64 v[4:5], 20, v[4:5]
	v_cmp_gt_i32_e32 vcc, 16, v28
	v_cndmask_b32_e32 v5, 0, v5, vcc
	v_cndmask_b32_e32 v4, 7, v4, vcc
	v_cmp_ne_u32_e32 vcc, 0, v28
	v_cmp_ne_u64_e64 s[0:1], 0, v[4:5]
	s_or_b64 s[0:1], vcc, s[0:1]
                                        ; implicit-def: $vgpr9
	s_and_saveexec_b64 s[18:19], s[0:1]
	s_xor_b64 s[0:1], exec, s[18:19]
; %bb.274:
	v_min_i32_e32 v5, 15, v28
	v_lshl_or_b32 v5, v5, 3, v8
	v_and_or_b32 v9, v4, 7, v5
                                        ; implicit-def: $vgpr8
; %bb.275:
	s_andn2_saveexec_b64 s[0:1], s[0:1]
; %bb.276:
	v_mov_b32_e32 v9, v8
; %bb.277:
	s_or_b64 exec, exec, s[0:1]
.LBB0_278:
	s_or_b64 exec, exec, s[16:17]
.LBB0_279:
	s_andn2_saveexec_b64 s[0:1], s[14:15]
	s_or_b64 exec, exec, s[0:1]
                                        ; implicit-def: $vgpr28
                                        ; implicit-def: $vgpr4_vgpr5
.LBB0_280:
	s_andn2_saveexec_b64 s[0:1], s[8:9]
; %bb.281:
	s_movk_i32 s8, 0x7f
	v_or_b32_sdwa v8, v28, s8 dst_sel:DWORD dst_unused:UNUSED_PAD src0_sel:BYTE_3 src1_sel:DWORD
	v_cmp_eq_u64_e32 vcc, 0, v[4:5]
	v_cndmask_b32_e32 v9, v8, v9, vcc
; %bb.282:
	s_or_b64 exec, exec, s[0:1]
	v_mov_b32_e32 v8, 0x240
	v_lshlrev_b64 v[4:5], 3, v[18:19]
	v_mad_i64_i32 v[18:19], s[0:1], s20, v8, v[20:21]
	v_add_co_u32_e32 v4, vcc, v18, v4
	v_addc_co_u32_e32 v5, vcc, v19, v5, vcc
	v_add_co_u32_e32 v2, vcc, v2, v1
	v_lshlrev_b16_e32 v1, 8, v13
	v_lshlrev_b16_e32 v8, 8, v9
	v_or_b32_sdwa v1, v15, v1 dst_sel:DWORD dst_unused:UNUSED_PAD src0_sel:BYTE_0 src1_sel:DWORD
	v_or_b32_sdwa v8, v11, v8 dst_sel:WORD_1 dst_unused:UNUSED_PAD src0_sel:BYTE_0 src1_sel:DWORD
	v_or_b32_sdwa v19, v1, v8 dst_sel:DWORD dst_unused:UNUSED_PAD src0_sel:WORD_0 src1_sel:DWORD
	v_lshlrev_b16_e32 v1, 8, v25
	v_lshlrev_b16_e32 v8, 8, v22
	v_or_b32_sdwa v1, v27, v1 dst_sel:DWORD dst_unused:UNUSED_PAD src0_sel:BYTE_0 src1_sel:DWORD
	v_or_b32_sdwa v8, v23, v8 dst_sel:WORD_1 dst_unused:UNUSED_PAD src0_sel:BYTE_0 src1_sel:DWORD
	v_or_b32_sdwa v18, v1, v8 dst_sel:DWORD dst_unused:UNUSED_PAD src0_sel:WORD_0 src1_sel:DWORD
	;; [unrolled: 5-line block ×3, first 2 shown]
	v_lshlrev_b16_e32 v1, 8, v10
	v_or_b32_sdwa v1, v7, v1 dst_sel:DWORD dst_unused:UNUSED_PAD src0_sel:BYTE_0 src1_sel:DWORD
	v_lshlrev_b16_e32 v7, 8, v14
	v_addc_co_u32_e32 v3, vcc, 0, v3, vcc
	v_or_b32_sdwa v7, v12, v7 dst_sel:WORD_1 dst_unused:UNUSED_PAD src0_sel:BYTE_0 src1_sel:DWORD
	v_and_b32_e32 v0, 3, v0
	v_or_b32_sdwa v16, v1, v7 dst_sel:DWORD dst_unused:UNUSED_PAD src0_sel:WORD_0 src1_sel:DWORD
	v_cmp_eq_u32_e32 vcc, 0, v0
	global_store_dwordx4 v[2:3], v[16:19], off
	s_and_saveexec_b64 s[0:1], vcc
	s_cbranch_execz .LBB0_284
; %bb.283:
	v_add_f32_e32 v1, 0x42fe0000, v6
	v_min_f32_e32 v1, 0x437f0000, v1
	v_max_f32_e32 v1, 0, v1
	v_cvt_i32_f32_e32 v2, v1
	v_lshrrev_b32_e32 v0, 2, v38
	v_add_co_u32_e32 v0, vcc, v4, v0
	v_addc_co_u32_e32 v1, vcc, 0, v5, vcc
	global_store_byte v[0:1], v2, off
.LBB0_284:
	s_or_b64 exec, exec, s[0:1]
	v_cmp_eq_u32_e32 vcc, 0, v38
	s_and_saveexec_b64 s[0:1], vcc
	s_cbranch_execz .LBB0_286
; %bb.285:
	v_mov_b32_e32 v0, 0
	global_store_byte v[4:5], v0, off offset:7
.LBB0_286:
	s_or_b64 exec, exec, s[0:1]
                                        ; implicit-def: $vgpr1
                                        ; implicit-def: $vgpr33
                                        ; implicit-def: $vgpr34
                                        ; implicit-def: $vgpr4
                                        ; implicit-def: $vgpr5
                                        ; implicit-def: $vgpr6
                                        ; implicit-def: $vgpr7
                                        ; implicit-def: $vgpr36
                                        ; implicit-def: $vgpr37
                                        ; implicit-def: $vgpr9
                                        ; implicit-def: $vgpr10
                                        ; implicit-def: $vgpr12
                                        ; implicit-def: $vgpr39
                                        ; implicit-def: $vgpr14
                                        ; implicit-def: $vgpr40
                                        ; implicit-def: $vgpr16
                                        ; implicit-def: $vgpr17
                                        ; implicit-def: $vgpr2_vgpr3
.LBB0_287:
	s_andn2_saveexec_b64 s[0:1], s[2:3]
                                        ; implicit-def: $vgpr35
	s_cbranch_execz .LBB0_289
; %bb.288:
	v_lshlrev_b32_e32 v0, 1, v1
	v_add_co_u32_e32 v18, vcc, v2, v0
	s_mov_b32 s0, 0x5040100
	v_addc_co_u32_e32 v19, vcc, 0, v3, vcc
	v_perm_b32 v3, v37, v36, s0
	v_perm_b32 v2, v7, v6, s0
	;; [unrolled: 1-line block ×4, first 2 shown]
	global_store_dwordx4 v[18:19], v[0:3], off offset:-448
	s_nop 0
	v_perm_b32 v3, v17, v16, s0
	v_perm_b32 v2, v40, v14, s0
	v_perm_b32 v1, v39, v12, s0
	v_perm_b32 v0, v10, v9, s0
	global_store_dwordx4 v[18:19], v[0:3], off offset:-432
.LBB0_289:
	s_or_b64 exec, exec, s[10:11]
                                        ; implicit-def: $vgpr2_vgpr3_vgpr4_vgpr5_vgpr6_vgpr7_vgpr8_vgpr9_vgpr10_vgpr11_vgpr12_vgpr13_vgpr14_vgpr15_vgpr16_vgpr17
                                        ; implicit-def: $vgpr34
                                        ; implicit-def: $vgpr36
                                        ; implicit-def: $vgpr1
	s_andn2_saveexec_b64 s[0:1], s[12:13]
	s_cbranch_execnz .LBB0_17
	s_branch .LBB0_18
	.section	.rodata,"a",@progbits
	.p2align	6, 0x0
	.amdhsa_kernel _ZN4vllm21deepseek_v4_fused_ops47fusedDeepseekV4QNormRopeKVRopeQuantInsertKernelIN3c104HalfELi8EEEvPKT_PS4_S6_PhPKlSA_PKffiiiii
		.amdhsa_group_segment_fixed_size 0
		.amdhsa_private_segment_fixed_size 0
		.amdhsa_kernarg_size 336
		.amdhsa_user_sgpr_count 6
		.amdhsa_user_sgpr_private_segment_buffer 1
		.amdhsa_user_sgpr_dispatch_ptr 0
		.amdhsa_user_sgpr_queue_ptr 0
		.amdhsa_user_sgpr_kernarg_segment_ptr 1
		.amdhsa_user_sgpr_dispatch_id 0
		.amdhsa_user_sgpr_flat_scratch_init 0
		.amdhsa_user_sgpr_kernarg_preload_length 0
		.amdhsa_user_sgpr_kernarg_preload_offset 0
		.amdhsa_user_sgpr_private_segment_size 0
		.amdhsa_uses_dynamic_stack 0
		.amdhsa_system_sgpr_private_segment_wavefront_offset 0
		.amdhsa_system_sgpr_workgroup_id_x 1
		.amdhsa_system_sgpr_workgroup_id_y 0
		.amdhsa_system_sgpr_workgroup_id_z 0
		.amdhsa_system_sgpr_workgroup_info 0
		.amdhsa_system_vgpr_workitem_id 0
		.amdhsa_next_free_vgpr 48
		.amdhsa_next_free_sgpr 28
		.amdhsa_accum_offset 48
		.amdhsa_reserve_vcc 1
		.amdhsa_reserve_flat_scratch 0
		.amdhsa_float_round_mode_32 0
		.amdhsa_float_round_mode_16_64 0
		.amdhsa_float_denorm_mode_32 3
		.amdhsa_float_denorm_mode_16_64 3
		.amdhsa_dx10_clamp 1
		.amdhsa_ieee_mode 1
		.amdhsa_fp16_overflow 0
		.amdhsa_tg_split 0
		.amdhsa_exception_fp_ieee_invalid_op 0
		.amdhsa_exception_fp_denorm_src 0
		.amdhsa_exception_fp_ieee_div_zero 0
		.amdhsa_exception_fp_ieee_overflow 0
		.amdhsa_exception_fp_ieee_underflow 0
		.amdhsa_exception_fp_ieee_inexact 0
		.amdhsa_exception_int_div_zero 0
	.end_amdhsa_kernel
	.section	.text._ZN4vllm21deepseek_v4_fused_ops47fusedDeepseekV4QNormRopeKVRopeQuantInsertKernelIN3c104HalfELi8EEEvPKT_PS4_S6_PhPKlSA_PKffiiiii,"axG",@progbits,_ZN4vllm21deepseek_v4_fused_ops47fusedDeepseekV4QNormRopeKVRopeQuantInsertKernelIN3c104HalfELi8EEEvPKT_PS4_S6_PhPKlSA_PKffiiiii,comdat
.Lfunc_end0:
	.size	_ZN4vllm21deepseek_v4_fused_ops47fusedDeepseekV4QNormRopeKVRopeQuantInsertKernelIN3c104HalfELi8EEEvPKT_PS4_S6_PhPKlSA_PKffiiiii, .Lfunc_end0-_ZN4vllm21deepseek_v4_fused_ops47fusedDeepseekV4QNormRopeKVRopeQuantInsertKernelIN3c104HalfELi8EEEvPKT_PS4_S6_PhPKlSA_PKffiiiii
                                        ; -- End function
	.section	.AMDGPU.csdata,"",@progbits
; Kernel info:
; codeLenInByte = 11612
; NumSgprs: 32
; NumVgprs: 48
; NumAgprs: 0
; TotalNumVgprs: 48
; ScratchSize: 0
; MemoryBound: 1
; FloatMode: 240
; IeeeMode: 1
; LDSByteSize: 0 bytes/workgroup (compile time only)
; SGPRBlocks: 3
; VGPRBlocks: 5
; NumSGPRsForWavesPerEU: 32
; NumVGPRsForWavesPerEU: 48
; AccumOffset: 48
; Occupancy: 8
; WaveLimiterHint : 1
; COMPUTE_PGM_RSRC2:SCRATCH_EN: 0
; COMPUTE_PGM_RSRC2:USER_SGPR: 6
; COMPUTE_PGM_RSRC2:TRAP_HANDLER: 0
; COMPUTE_PGM_RSRC2:TGID_X_EN: 1
; COMPUTE_PGM_RSRC2:TGID_Y_EN: 0
; COMPUTE_PGM_RSRC2:TGID_Z_EN: 0
; COMPUTE_PGM_RSRC2:TIDIG_COMP_CNT: 0
; COMPUTE_PGM_RSRC3_GFX90A:ACCUM_OFFSET: 11
; COMPUTE_PGM_RSRC3_GFX90A:TG_SPLIT: 0
	.section	.text._ZN4vllm21deepseek_v4_fused_ops47fusedDeepseekV4QNormRopeKVRopeQuantInsertKernelIN3c104HalfELi16EEEvPKT_PS4_S6_PhPKlSA_PKffiiiii,"axG",@progbits,_ZN4vllm21deepseek_v4_fused_ops47fusedDeepseekV4QNormRopeKVRopeQuantInsertKernelIN3c104HalfELi16EEEvPKT_PS4_S6_PhPKlSA_PKffiiiii,comdat
	.protected	_ZN4vllm21deepseek_v4_fused_ops47fusedDeepseekV4QNormRopeKVRopeQuantInsertKernelIN3c104HalfELi16EEEvPKT_PS4_S6_PhPKlSA_PKffiiiii ; -- Begin function _ZN4vllm21deepseek_v4_fused_ops47fusedDeepseekV4QNormRopeKVRopeQuantInsertKernelIN3c104HalfELi16EEEvPKT_PS4_S6_PhPKlSA_PKffiiiii
	.globl	_ZN4vllm21deepseek_v4_fused_ops47fusedDeepseekV4QNormRopeKVRopeQuantInsertKernelIN3c104HalfELi16EEEvPKT_PS4_S6_PhPKlSA_PKffiiiii
	.p2align	8
	.type	_ZN4vllm21deepseek_v4_fused_ops47fusedDeepseekV4QNormRopeKVRopeQuantInsertKernelIN3c104HalfELi16EEEvPKT_PS4_S6_PhPKlSA_PKffiiiii,@function
_ZN4vllm21deepseek_v4_fused_ops47fusedDeepseekV4QNormRopeKVRopeQuantInsertKernelIN3c104HalfELi16EEEvPKT_PS4_S6_PhPKlSA_PKffiiiii: ; @_ZN4vllm21deepseek_v4_fused_ops47fusedDeepseekV4QNormRopeKVRopeQuantInsertKernelIN3c104HalfELi16EEEvPKT_PS4_S6_PhPKlSA_PKffiiiii
; %bb.0:
	s_load_dword s0, s[4:5], 0x5c
	s_load_dwordx4 s[16:19], s[4:5], 0x38
	v_lshrrev_b32_e32 v1, 5, v0
	s_waitcnt lgkmcnt(0)
	s_bfe_u32 s0, s0, 0xb0005
	s_mul_i32 s6, s6, s0
	v_add_u32_e32 v1, s6, v1
	s_mov_b32 s0, 0x78787879
	v_mul_hi_i32 v2, v1, s0
	v_lshrrev_b32_e32 v3, 31, v2
	v_ashrrev_i32_e32 v2, 3, v2
	v_add_u32_e32 v34, v2, v3
	v_cmp_gt_i32_e32 vcc, s17, v34
	s_and_saveexec_b64 s[0:1], vcc
	s_cbranch_execz .LBB1_10
; %bb.1:
	s_load_dwordx2 s[20:21], s[4:5], 0x48
	v_lshl_add_u32 v2, v34, 4, v34
	v_sub_u32_e32 v36, v1, v2
	v_cmp_ne_u32_e64 s[0:1], 16, v36
	v_cmp_gt_i32_e64 s[2:3], s18, v34
	v_cmp_eq_u32_e32 vcc, 16, v36
	s_or_b64 s[2:3], s[0:1], s[2:3]
	s_and_b64 exec, exec, s[2:3]
	s_cbranch_execz .LBB1_10
; %bb.2:
	s_load_dwordx2 s[6:7], s[4:5], 0x8
	s_load_dwordx8 s[8:15], s[4:5], 0x18
	v_cmp_gt_i32_e64 s[2:3], s19, v36
	s_xor_b64 s[22:23], s[0:1], -1
	v_and_b32_e32 v38, 31, v0
	s_or_b64 s[22:23], s[22:23], s[2:3]
	v_lshlrev_b32_e32 v1, 4, v38
	v_ashrrev_i32_e32 v35, 31, v34
                                        ; implicit-def: $vgpr11
                                        ; implicit-def: $vgpr19
	s_and_saveexec_b64 s[24:25], s[22:23]
	s_cbranch_execz .LBB1_11
; %bb.3:
                                        ; implicit-def: $vgpr2_vgpr3
	s_and_saveexec_b64 s[2:3], vcc
	s_xor_b64 s[26:27], exec, s[2:3]
	s_cbranch_execz .LBB1_5
; %bb.4:
	s_load_dwordx2 s[2:3], s[4:5], 0x10
	v_lshlrev_b64 v[2:3], 10, v[34:35]
	s_waitcnt lgkmcnt(0)
	v_mov_b32_e32 v4, s3
	v_add_co_u32_e64 v2, s[2:3], s2, v2
	v_addc_co_u32_e64 v3, s[2:3], v4, v3, s[2:3]
	v_lshlrev_b32_e32 v4, 1, v1
	v_add_co_u32_e64 v2, s[2:3], v2, v4
	v_addc_co_u32_e64 v3, s[2:3], 0, v3, s[2:3]
.LBB1_5:
	s_andn2_saveexec_b64 s[26:27], s[26:27]
	s_cbranch_execz .LBB1_7
; %bb.6:
	s_load_dwordx2 s[2:3], s[4:5], 0x0
	v_ashrrev_i32_e32 v37, 31, v36
	v_mad_i64_i32 v[2:3], s[4:5], v34, s19, v[36:37]
	v_lshlrev_b64 v[2:3], 10, v[2:3]
	v_lshl_or_b32 v2, v1, 1, v2
	s_waitcnt lgkmcnt(0)
	v_mov_b32_e32 v4, s3
	v_add_co_u32_e64 v2, s[2:3], s2, v2
	v_addc_co_u32_e64 v3, s[2:3], v4, v3, s[2:3]
.LBB1_7:
	s_or_b64 exec, exec, s[26:27]
	global_load_dwordx4 v[16:19], v[2:3], off offset:16
	global_load_dwordx4 v[8:11], v[2:3], off
	s_or_b64 exec, exec, s[24:25]
	s_and_saveexec_b64 s[2:3], s[22:23]
	s_xor_b64 s[4:5], exec, s[2:3]
	s_cbranch_execnz .LBB1_12
.LBB1_8:
	s_andn2_saveexec_b64 s[0:1], s[4:5]
	s_cbranch_execz .LBB1_10
.LBB1_9:
	v_lshlrev_b64 v[2:3], 14, v[34:35]
	v_ashrrev_i32_e32 v37, 31, v36
	s_waitcnt lgkmcnt(0)
	v_mov_b32_e32 v0, s7
	v_add_co_u32_e32 v4, vcc, s6, v2
	v_addc_co_u32_e32 v0, vcc, v0, v3, vcc
	v_lshlrev_b64 v[2:3], 10, v[36:37]
	v_add_co_u32_e32 v2, vcc, v4, v2
	v_addc_co_u32_e32 v0, vcc, v0, v3, vcc
	v_lshlrev_b32_e32 v1, 1, v1
	s_mov_b32 s0, 0
	v_add_co_u32_e32 v4, vcc, v2, v1
	s_mov_b32 s1, s0
	v_addc_co_u32_e32 v5, vcc, 0, v0, vcc
	s_mov_b32 s2, s0
	s_mov_b32 s3, s0
	v_pk_mov_b32 v[0:1], s[0:1], s[0:1] op_sel:[0,1]
	v_pk_mov_b32 v[2:3], s[2:3], s[2:3] op_sel:[0,1]
	global_store_dwordx4 v[4:5], v[0:3], off
	global_store_dwordx4 v[4:5], v[0:3], off offset:16
.LBB1_10:
	s_endpgm
.LBB1_11:
	s_or_b64 exec, exec, s[24:25]
	s_and_saveexec_b64 s[2:3], s[22:23]
	s_xor_b64 s[4:5], exec, s[2:3]
	s_cbranch_execz .LBB1_8
.LBB1_12:
	s_waitcnt vmcnt(0)
	v_cvt_f32_f16_sdwa v3, v8 dst_sel:DWORD dst_unused:UNUSED_PAD src0_sel:WORD_1
	v_cvt_f32_f16_e32 v2, v8
	v_cvt_f32_f16_sdwa v5, v9 dst_sel:DWORD dst_unused:UNUSED_PAD src0_sel:WORD_1
	v_cvt_f32_f16_e32 v4, v9
	v_cvt_f32_f16_sdwa v7, v10 dst_sel:DWORD dst_unused:UNUSED_PAD src0_sel:WORD_1
	v_cvt_f32_f16_e32 v6, v10
	v_cvt_f32_f16_sdwa v9, v11 dst_sel:DWORD dst_unused:UNUSED_PAD src0_sel:WORD_1
	v_cvt_f32_f16_e32 v8, v11
	v_cvt_f32_f16_sdwa v11, v16 dst_sel:DWORD dst_unused:UNUSED_PAD src0_sel:WORD_1
	v_cvt_f32_f16_e32 v10, v16
	v_cvt_f32_f16_sdwa v13, v17 dst_sel:DWORD dst_unused:UNUSED_PAD src0_sel:WORD_1
	v_cvt_f32_f16_e32 v12, v17
	v_cvt_f32_f16_sdwa v15, v18 dst_sel:DWORD dst_unused:UNUSED_PAD src0_sel:WORD_1
	v_cvt_f32_f16_e32 v14, v18
	v_cvt_f32_f16_sdwa v17, v19 dst_sel:DWORD dst_unused:UNUSED_PAD src0_sel:WORD_1
	v_cvt_f32_f16_e32 v16, v19
	s_and_saveexec_b64 s[2:3], s[0:1]
	s_cbranch_execz .LBB1_14
; %bb.13:
	v_pk_mul_f32 v[18:19], v[2:3], v[2:3]
	v_pk_mul_f32 v[20:21], v[4:5], v[4:5]
	v_add_f32_e32 v18, v18, v19
	v_add_f32_e32 v18, v20, v18
	v_pk_mul_f32 v[22:23], v[6:7], v[6:7]
	v_add_f32_e32 v18, v21, v18
	v_add_f32_e32 v18, v22, v18
	;; [unrolled: 3-line block ×4, first 2 shown]
	v_pk_mul_f32 v[28:29], v[12:13], v[12:13]
	v_add_f32_e32 v18, v27, v18
	v_mbcnt_lo_u32_b32 v19, -1, 0
	v_add_f32_e32 v18, v28, v18
	v_mbcnt_hi_u32_b32 v19, -1, v19
	v_pk_mul_f32 v[30:31], v[14:15], v[14:15]
	v_add_f32_e32 v18, v29, v18
	v_and_b32_e32 v20, 0x60, v19
	v_add_f32_e32 v18, v30, v18
	v_add_u32_e32 v20, 32, v20
	v_xor_b32_e32 v21, 16, v19
	v_pk_mul_f32 v[32:33], v[16:17], v[16:17]
	v_add_f32_e32 v18, v31, v18
	v_cmp_lt_i32_e64 s[0:1], v21, v20
	v_add_f32_e32 v18, v32, v18
	v_cndmask_b32_e64 v21, v19, v21, s[0:1]
	v_add_f32_e32 v18, v33, v18
	v_lshlrev_b32_e32 v21, 2, v21
	ds_bpermute_b32 v21, v21, v18
	s_waitcnt lgkmcnt(0)
	v_add_f32_e32 v18, v18, v21
	v_xor_b32_e32 v21, 8, v19
	v_cmp_lt_i32_e64 s[0:1], v21, v20
	v_cndmask_b32_e64 v21, v19, v21, s[0:1]
	v_lshlrev_b32_e32 v21, 2, v21
	ds_bpermute_b32 v21, v21, v18
	s_waitcnt lgkmcnt(0)
	v_add_f32_e32 v18, v18, v21
	v_xor_b32_e32 v21, 4, v19
	v_cmp_lt_i32_e64 s[0:1], v21, v20
	v_cndmask_b32_e64 v21, v19, v21, s[0:1]
	;; [unrolled: 7-line block ×4, first 2 shown]
	v_lshlrev_b32_e32 v19, 2, v19
	ds_bpermute_b32 v19, v19, v18
	s_mov_b32 s0, 0x800000
	s_waitcnt lgkmcnt(0)
	v_add_f32_e32 v18, v18, v19
	v_mov_b32_e32 v19, s16
	v_fmac_f32_e32 v19, 0x3b000000, v18
	v_mul_f32_e32 v18, 0x4b800000, v19
	v_cmp_gt_f32_e64 s[0:1], s0, v19
	v_cndmask_b32_e64 v18, v19, v18, s[0:1]
	v_rsq_f32_e32 v18, v18
	v_mul_f32_e32 v19, 0x45800000, v18
	v_cndmask_b32_e64 v18, v18, v19, s[0:1]
	v_pk_mul_f32 v[16:17], v[18:19], v[16:17] op_sel_hi:[0,1]
	v_pk_mul_f32 v[14:15], v[18:19], v[14:15] op_sel_hi:[0,1]
	;; [unrolled: 1-line block ×8, first 2 shown]
.LBB1_14:
	s_or_b64 exec, exec, s[2:3]
	v_cmp_gt_u32_e64 s[0:1], 28, v38
	v_cmp_lt_u32_e64 s[2:3], 27, v38
	s_and_saveexec_b64 s[16:17], s[2:3]
	s_cbranch_execz .LBB1_19
; %bb.15:
	v_lshlrev_b64 v[18:19], 3, v[34:35]
	s_waitcnt lgkmcnt(0)
	v_mov_b32_e32 v20, s13
	v_add_co_u32_e64 v18, s[2:3], s12, v18
	v_addc_co_u32_e64 v19, s[2:3], v20, v19, s[2:3]
	global_load_dwordx2 v[18:19], v[18:19], off
	v_add_u32_e32 v20, 0xfffffe40, v1
	v_mov_b32_e32 v22, s15
	v_mov_b32_e32 v21, 0
	v_lshrrev_b32_e32 v20, 1, v20
	v_lshlrev_b64 v[20:21], 2, v[20:21]
	s_waitcnt vmcnt(0)
	v_lshlrev_b64 v[18:19], 8, v[18:19]
	v_add_co_u32_e64 v18, s[2:3], s14, v18
	v_addc_co_u32_e64 v19, s[2:3], v22, v19, s[2:3]
	v_add_co_u32_e64 v18, s[2:3], v18, v20
	v_addc_co_u32_e64 v19, s[2:3], v19, v21, s[2:3]
	global_load_dwordx4 v[22:25], v[18:19], off offset:128
	global_load_dwordx4 v[30:33], v[18:19], off offset:144
	global_load_dwordx4 v[40:43], v[18:19], off
	global_load_dwordx4 v[44:47], v[18:19], off offset:16
	s_waitcnt vmcnt(3)
	v_mul_f32_e32 v18, v3, v22
	v_mul_f32_e32 v19, v2, v22
	;; [unrolled: 1-line block ×8, first 2 shown]
	s_waitcnt vmcnt(2)
	v_mul_f32_e32 v26, v11, v30
	v_mul_f32_e32 v27, v10, v30
	;; [unrolled: 1-line block ×8, first 2 shown]
	s_waitcnt vmcnt(1)
	v_fma_f32 v18, v2, v40, -v18
	v_fmac_f32_e32 v19, v3, v40
	v_fma_f32 v20, v4, v41, -v20
	v_fmac_f32_e32 v21, v5, v41
	;; [unrolled: 2-line block ×4, first 2 shown]
	s_waitcnt vmcnt(0)
	v_fma_f32 v26, v10, v44, -v26
	v_fmac_f32_e32 v27, v11, v44
	v_fma_f32 v28, v12, v45, -v28
	v_fmac_f32_e32 v29, v13, v45
	;; [unrolled: 2-line block ×4, first 2 shown]
	v_pk_mov_b32 v[2:3], v[18:19], v[18:19] op_sel:[0,1]
	v_pk_mov_b32 v[4:5], v[20:21], v[20:21] op_sel:[0,1]
	;; [unrolled: 1-line block ×8, first 2 shown]
	s_or_b64 exec, exec, s[16:17]
	s_and_saveexec_b64 s[2:3], vcc
	s_xor_b64 s[12:13], exec, s[2:3]
	s_cbranch_execnz .LBB1_20
.LBB1_16:
	s_andn2_saveexec_b64 s[0:1], s[12:13]
	s_cbranch_execz .LBB1_18
.LBB1_17:
	v_cvt_f16_f32_e32 v0, v2
	v_cvt_f16_f32_e32 v18, v3
	v_lshlrev_b64 v[2:3], 14, v[34:35]
	v_cvt_f16_f32_e32 v19, v4
	v_cvt_f16_f32_e32 v20, v5
	v_ashrrev_i32_e32 v37, 31, v36
	v_mov_b32_e32 v4, s7
	v_add_co_u32_e32 v5, vcc, s6, v2
	v_cvt_f16_f32_e32 v6, v6
	v_cvt_f16_f32_e32 v7, v7
	;; [unrolled: 1-line block ×4, first 2 shown]
	v_addc_co_u32_e32 v4, vcc, v4, v3, vcc
	v_lshlrev_b64 v[2:3], 10, v[36:37]
	v_cvt_f16_f32_e32 v10, v10
	v_cvt_f16_f32_e32 v11, v11
	;; [unrolled: 1-line block ×8, first 2 shown]
	v_add_co_u32_e32 v2, vcc, v5, v2
	v_addc_co_u32_e32 v3, vcc, v4, v3, vcc
	v_lshlrev_b32_e32 v1, 1, v1
	v_add_co_u32_e32 v4, vcc, v2, v1
	v_addc_co_u32_e32 v5, vcc, 0, v3, vcc
	v_pack_b32_f16 v3, v8, v9
	v_pack_b32_f16 v2, v6, v7
	;; [unrolled: 1-line block ×4, first 2 shown]
	global_store_dwordx4 v[4:5], v[0:3], off
	s_nop 0
	v_pack_b32_f16 v3, v16, v17
	v_pack_b32_f16 v2, v14, v15
	;; [unrolled: 1-line block ×4, first 2 shown]
	global_store_dwordx4 v[4:5], v[0:3], off offset:16
.LBB1_18:
	s_or_b64 exec, exec, s[0:1]
                                        ; implicit-def: $vgpr34
                                        ; implicit-def: $vgpr36
                                        ; implicit-def: $vgpr1
	s_andn2_saveexec_b64 s[0:1], s[4:5]
	s_cbranch_execnz .LBB1_9
	s_branch .LBB1_10
.LBB1_19:
	s_or_b64 exec, exec, s[16:17]
	s_and_saveexec_b64 s[2:3], vcc
	s_waitcnt lgkmcnt(0)
	s_xor_b64 s[12:13], exec, s[2:3]
	s_cbranch_execz .LBB1_16
.LBB1_20:
	v_lshlrev_b64 v[18:19], 3, v[34:35]
	v_mov_b32_e32 v20, s11
	v_add_co_u32_e32 v18, vcc, s10, v18
	v_addc_co_u32_e32 v19, vcc, v20, v19, vcc
	global_load_dwordx2 v[18:19], v[18:19], off
	s_waitcnt vmcnt(0)
	v_cmp_lt_i64_e32 vcc, -1, v[18:19]
	s_and_saveexec_b64 s[10:11], vcc
                                        ; implicit-def: $vgpr35
	s_cbranch_execz .LBB1_289
; %bb.21:
	s_ashr_i32 s22, s20, 31
	v_or_b32_e32 v21, s22, v19
	v_mov_b32_e32 v20, 0
	v_cmp_ne_u64_e32 vcc, 0, v[20:21]
                                        ; implicit-def: $vgpr22_vgpr23
	s_and_saveexec_b64 s[2:3], vcc
	s_xor_b64 s[14:15], exec, s[2:3]
	s_cbranch_execz .LBB1_23
; %bb.22:
	s_add_u32 s2, s20, s22
	s_mov_b32 s16, s22
	s_mov_b32 s17, s22
	s_addc_u32 s3, s22, s22
	s_xor_b64 s[18:19], s[2:3], s[16:17]
	v_cvt_f32_u32_e32 v20, s18
	v_cvt_f32_u32_e32 v21, s19
	s_sub_u32 s2, 0, s18
	s_subb_u32 s3, 0, s19
	v_madmk_f32 v20, v21, 0x4f800000, v20
	v_rcp_f32_e32 v20, v20
	v_mul_f32_e32 v20, 0x5f7ffffc, v20
	v_mul_f32_e32 v21, 0x2f800000, v20
	v_trunc_f32_e32 v21, v21
	v_madmk_f32 v20, v21, 0xcf800000, v20
	v_cvt_u32_f32_e32 v21, v21
	v_cvt_u32_f32_e32 v20, v20
	v_mul_lo_u32 v22, s2, v21
	v_mul_hi_u32 v24, s2, v20
	v_mul_lo_u32 v23, s3, v20
	v_add_u32_e32 v22, v24, v22
	v_mul_lo_u32 v25, s2, v20
	v_add_u32_e32 v22, v22, v23
	v_mul_lo_u32 v24, v20, v22
	v_mul_hi_u32 v26, v20, v25
	v_mul_hi_u32 v23, v20, v22
	v_add_co_u32_e32 v24, vcc, v26, v24
	v_addc_co_u32_e32 v23, vcc, 0, v23, vcc
	v_mul_hi_u32 v27, v21, v25
	v_mul_lo_u32 v25, v21, v25
	v_add_co_u32_e32 v24, vcc, v24, v25
	v_mul_hi_u32 v26, v21, v22
	v_addc_co_u32_e32 v23, vcc, v23, v27, vcc
	v_addc_co_u32_e32 v24, vcc, 0, v26, vcc
	v_mul_lo_u32 v22, v21, v22
	v_add_co_u32_e32 v22, vcc, v23, v22
	v_addc_co_u32_e32 v23, vcc, 0, v24, vcc
	v_add_co_u32_e32 v20, vcc, v20, v22
	v_addc_co_u32_e32 v21, vcc, v21, v23, vcc
	v_mul_lo_u32 v22, s2, v21
	v_mul_hi_u32 v23, s2, v20
	v_add_u32_e32 v22, v23, v22
	v_mul_lo_u32 v23, s3, v20
	v_add_u32_e32 v22, v22, v23
	v_mul_lo_u32 v24, s2, v20
	v_mul_hi_u32 v25, v21, v24
	v_mul_lo_u32 v26, v21, v24
	v_mul_lo_u32 v28, v20, v22
	v_mul_hi_u32 v24, v20, v24
	v_mul_hi_u32 v27, v20, v22
	v_add_co_u32_e32 v24, vcc, v24, v28
	v_addc_co_u32_e32 v27, vcc, 0, v27, vcc
	v_add_co_u32_e32 v24, vcc, v24, v26
	v_mul_hi_u32 v23, v21, v22
	v_addc_co_u32_e32 v24, vcc, v27, v25, vcc
	v_addc_co_u32_e32 v23, vcc, 0, v23, vcc
	v_mul_lo_u32 v22, v21, v22
	v_add_co_u32_e32 v22, vcc, v24, v22
	v_addc_co_u32_e32 v23, vcc, 0, v23, vcc
	v_add_co_u32_e32 v22, vcc, v20, v22
	v_addc_co_u32_e32 v23, vcc, v21, v23, vcc
	v_ashrrev_i32_e32 v24, 31, v19
	v_add_co_u32_e32 v20, vcc, v18, v24
	v_addc_co_u32_e32 v21, vcc, v19, v24, vcc
	v_xor_b32_e32 v26, v20, v24
	v_xor_b32_e32 v25, v21, v24
	v_mad_u64_u32 v[20:21], s[2:3], v26, v23, 0
	v_mul_hi_u32 v27, v26, v22
	v_add_co_u32_e32 v27, vcc, v27, v20
	v_addc_co_u32_e32 v28, vcc, 0, v21, vcc
	v_mad_u64_u32 v[20:21], s[2:3], v25, v23, 0
	v_mad_u64_u32 v[22:23], s[2:3], v25, v22, 0
	v_add_co_u32_e32 v22, vcc, v27, v22
	v_addc_co_u32_e32 v22, vcc, v28, v23, vcc
	v_addc_co_u32_e32 v21, vcc, 0, v21, vcc
	v_add_co_u32_e32 v22, vcc, v22, v20
	v_addc_co_u32_e32 v23, vcc, 0, v21, vcc
	v_mul_lo_u32 v27, s19, v22
	v_mul_lo_u32 v28, s18, v23
	v_mad_u64_u32 v[20:21], s[2:3], s18, v22, 0
	v_add3_u32 v21, v21, v28, v27
	v_sub_u32_e32 v27, v25, v21
	v_mov_b32_e32 v28, s19
	v_sub_co_u32_e32 v20, vcc, v26, v20
	v_subb_co_u32_e64 v26, s[2:3], v27, v28, vcc
	v_subrev_co_u32_e64 v27, s[2:3], s18, v20
	v_subbrev_co_u32_e64 v26, s[2:3], 0, v26, s[2:3]
	v_cmp_le_u32_e64 s[2:3], s19, v26
	v_cndmask_b32_e64 v28, 0, -1, s[2:3]
	v_cmp_le_u32_e64 s[2:3], s18, v27
	v_cndmask_b32_e64 v27, 0, -1, s[2:3]
	v_cmp_eq_u32_e64 s[2:3], s19, v26
	v_cndmask_b32_e64 v26, v28, v27, s[2:3]
	v_add_co_u32_e64 v27, s[2:3], 2, v22
	v_subb_co_u32_e32 v21, vcc, v25, v21, vcc
	v_addc_co_u32_e64 v28, s[2:3], 0, v23, s[2:3]
	v_cmp_le_u32_e32 vcc, s19, v21
	v_add_co_u32_e64 v29, s[2:3], 1, v22
	v_cndmask_b32_e64 v25, 0, -1, vcc
	v_cmp_le_u32_e32 vcc, s18, v20
	v_addc_co_u32_e64 v30, s[2:3], 0, v23, s[2:3]
	v_cndmask_b32_e64 v20, 0, -1, vcc
	v_cmp_eq_u32_e32 vcc, s19, v21
	v_cmp_ne_u32_e64 s[2:3], 0, v26
	v_cndmask_b32_e32 v20, v25, v20, vcc
	v_cmp_ne_u32_e32 vcc, 0, v20
	v_cndmask_b32_e64 v21, v29, v27, s[2:3]
	v_cndmask_b32_e64 v26, v30, v28, s[2:3]
	v_cndmask_b32_e32 v21, v22, v21, vcc
	v_xor_b32_e32 v22, s16, v24
	v_cndmask_b32_e32 v20, v23, v26, vcc
	v_xor_b32_e32 v23, s17, v24
	v_xor_b32_e32 v21, v21, v22
	;; [unrolled: 1-line block ×3, first 2 shown]
	v_sub_co_u32_e32 v22, vcc, v21, v22
	v_subb_co_u32_e32 v23, vcc, v20, v23, vcc
.LBB1_23:
	s_andn2_saveexec_b64 s[2:3], s[14:15]
	s_cbranch_execz .LBB1_25
; %bb.24:
	v_cvt_f32_u32_e32 v20, s20
	s_sub_i32 s14, 0, s20
	v_rcp_iflag_f32_e32 v20, v20
	v_mul_f32_e32 v20, 0x4f7ffffe, v20
	v_cvt_u32_f32_e32 v20, v20
	v_mul_lo_u32 v21, s14, v20
	v_mul_hi_u32 v21, v20, v21
	v_add_u32_e32 v20, v20, v21
	v_mul_hi_u32 v20, v18, v20
	v_mul_lo_u32 v21, v20, s20
	v_sub_u32_e32 v21, v18, v21
	v_add_u32_e32 v22, 1, v20
	v_subrev_u32_e32 v23, s20, v21
	v_cmp_le_u32_e32 vcc, s20, v21
	v_cndmask_b32_e32 v21, v21, v23, vcc
	v_cndmask_b32_e32 v20, v20, v22, vcc
	v_add_u32_e32 v22, 1, v20
	v_cmp_le_u32_e32 vcc, s20, v21
	v_cndmask_b32_e32 v22, v20, v22, vcc
	v_mov_b32_e32 v23, 0
.LBB1_25:
	s_or_b64 exec, exec, s[2:3]
	v_cvt_f16_f32_e32 v33, v2
	v_cvt_f16_f32_e32 v34, v3
	;; [unrolled: 1-line block ×8, first 2 shown]
	v_cvt_f32_f16_e32 v35, v33
	v_cvt_f32_f16_e32 v32, v34
	v_cvt_f16_f32_e32 v9, v10
	v_cvt_f16_f32_e32 v10, v11
	v_cvt_f32_f16_e32 v31, v4
	v_cvt_f32_f16_e32 v30, v5
	v_cvt_f16_f32_e32 v12, v12
	v_cvt_f16_f32_e32 v39, v13
	v_mul_lo_u32 v24, v23, s20
	v_mul_lo_u32 v25, v22, s22
	v_mad_u64_u32 v[20:21], s[2:3], v22, s20, 0
	v_cvt_f32_f16_e32 v29, v6
	v_cvt_f32_f16_e32 v28, v7
	v_cvt_f16_f32_e32 v14, v14
	v_cvt_f16_f32_e32 v40, v15
	v_add3_u32 v21, v21, v25, v24
	v_sub_co_u32_e32 v18, vcc, v18, v20
	v_cvt_f32_f16_e32 v24, v36
	v_cvt_f32_f16_e32 v26, v37
	v_cvt_f16_f32_e32 v16, v16
	v_cvt_f16_f32_e32 v17, v17
	v_subb_co_u32_e32 v19, vcc, v19, v21, vcc
	s_ashr_i32 s14, s21, 31
	v_pk_mov_b32 v[20:21], s[8:9], s[8:9] op_sel:[0,1]
	v_cvt_f32_f16_e32 v27, v9
	v_cvt_f32_f16_e32 v25, v10
	v_max3_f32 v2, |v35|, 0, |v32|
	v_mad_u64_u32 v[20:21], s[2:3], v22, s21, v[20:21]
	v_mul_lo_u32 v41, v23, s21
	v_mul_lo_u32 v42, v22, s14
	v_cvt_f32_f16_e32 v23, v12
	v_cvt_f32_f16_e32 v22, v39
	v_max3_f32 v2, v2, |v31|, |v30|
	v_cvt_f32_f16_e32 v15, v14
	v_cvt_f32_f16_e32 v13, v40
	v_max3_f32 v2, v2, |v29|, |v28|
	;; [unrolled: 3-line block ×3, first 2 shown]
	v_max3_f32 v2, v2, |v27|, |v25|
	v_max3_f32 v2, v2, |v23|, |v22|
	;; [unrolled: 1-line block ×4, first 2 shown]
	v_mbcnt_lo_u32_b32 v2, -1, 0
	v_mbcnt_hi_u32_b32 v44, -1, v2
	v_and_b32_e32 v3, 64, v44
	v_xor_b32_e32 v2, 1, v44
	v_add_u32_e32 v45, 64, v3
	v_cmp_lt_i32_e32 vcc, v2, v45
	v_cndmask_b32_e32 v2, v44, v2, vcc
	v_lshlrev_b32_e32 v2, 2, v2
	ds_bpermute_b32 v46, v2, v43
	v_add3_u32 v21, v41, v21, v42
	v_xor_b32_e32 v42, 2, v44
	v_cmp_lt_i32_e32 vcc, v42, v45
	v_cndmask_b32_e32 v42, v44, v42, vcc
	s_waitcnt lgkmcnt(0)
	v_max_f32_e32 v41, v46, v46
	v_max_f32_e32 v41, v43, v41
	v_lshlrev_b32_e32 v42, 2, v42
	s_movk_i32 s8, 0x240
	ds_bpermute_b32 v42, v42, v41
	v_mad_u64_u32 v[2:3], s[2:3], v18, s8, v[20:21]
	v_mov_b32_e32 v44, v3
	v_mad_u64_u32 v[44:45], s[2:3], v19, s8, v[44:45]
	v_mov_b32_e32 v3, v44
	s_and_saveexec_b64 s[2:3], s[0:1]
	s_xor_b64 s[2:3], exec, s[2:3]
	s_cbranch_execz .LBB1_287
; %bb.26:
	s_mov_b32 s0, 0x38d1b717
	s_waitcnt lgkmcnt(0)
	v_max3_f32 v4, v41, v42, s0
	s_mov_b32 s8, 0x43e00000
	v_div_scale_f32 v5, s[0:1], s8, s8, v4
	v_rcp_f32_e32 v6, v5
	s_mov_b32 s0, 0x800000
	v_fma_f32 v7, -v5, v6, 1.0
	v_fmac_f32_e32 v6, v7, v6
	v_div_scale_f32 v7, vcc, v4, s8, v4
	v_mul_f32_e32 v9, v7, v6
	v_fma_f32 v10, -v5, v9, v7
	v_fmac_f32_e32 v9, v10, v6
	v_fma_f32 v5, -v5, v9, v7
	v_div_fmas_f32 v5, v5, v6, v9
	v_div_fixup_f32 v4, v5, s8, v4
	v_mov_b32_e32 v5, 0x4f800000
	v_cmp_gt_f32_e32 vcc, s0, v4
	v_cndmask_b32_e32 v5, 1.0, v5, vcc
	v_mul_f32_e32 v4, v4, v5
	v_log_f32_e32 v4, v4
	v_mov_b32_e32 v5, 0x42000000
	v_cndmask_b32_e32 v5, 0, v5, vcc
	s_mov_b32 s0, 0x42fc0000
	v_sub_f32_e32 v4, v4, v5
	v_ceil_f32_e32 v6, v4
	v_mov_b32_e32 v4, 0x42800000
	v_cmp_lt_f32_e32 vcc, s0, v6
	v_cndmask_b32_e32 v4, 0, v4, vcc
	v_sub_f32_e32 v4, v4, v6
	v_exp_f32_e32 v4, v4
	v_mov_b32_e32 v5, 0x1f800000
	v_cndmask_b32_e32 v5, 1.0, v5, vcc
	s_movk_i32 s0, 0x80
	v_mul_f32_e32 v9, v4, v5
	v_mul_f32_e32 v4, v9, v35
	v_max_f32_e32 v4, 0xc3e00000, v4
	v_min_f32_e32 v12, 0x43e00000, v4
	v_mov_b32_e32 v5, 0
	v_and_b32_sdwa v10, v12, s0 dst_sel:DWORD dst_unused:UNUSED_PAD src0_sel:BYTE_3 src1_sel:DWORD
	v_and_b32_e32 v16, 0x7f800000, v12
	v_mov_b32_e32 v17, v5
	s_mov_b64 s[0:1], 0x7f800000
	v_and_b32_e32 v4, 0x7fffff, v12
	v_or_b32_e32 v7, 0x7e, v10
	v_cmp_ne_u64_e32 vcc, s[0:1], v[16:17]
	s_and_saveexec_b64 s[0:1], vcc
	s_xor_b64 s[8:9], exec, s[0:1]
	s_cbranch_execz .LBB1_40
; %bb.27:
	v_and_b32_e32 v16, 0x7fffffff, v12
	v_mov_b32_e32 v17, v5
	s_mov_b64 s[0:1], 0x43e00001
	v_cmp_gt_u64_e32 vcc, s[0:1], v[16:17]
	s_and_saveexec_b64 s[0:1], vcc
	s_xor_b64 s[14:15], exec, s[0:1]
	s_cbranch_execz .LBB1_39
; %bb.28:
	v_cmp_ne_u32_e32 vcc, 0, v12
	v_mov_b32_e32 v7, 0
	s_and_saveexec_b64 s[16:17], vcc
	s_cbranch_execz .LBB1_38
; %bb.29:
	v_bfe_u32 v7, v12, 23, 8
	s_movk_i32 s0, 0x7a
	v_sub_u32_e32 v14, 0x79, v7
	v_cmp_gt_u32_e32 vcc, s0, v7
	v_add_u32_e32 v12, 0xffffff81, v7
	v_cndmask_b32_e32 v14, 0, v14, vcc
	v_mov_b32_e32 v17, 0xffffff82
	v_cmp_eq_u32_e32 vcc, 0, v7
	v_cndmask_b32_e32 v7, v12, v17, vcc
	v_mov_b32_e32 v12, 0x78
	v_cndmask_b32_e32 v12, v14, v12, vcc
	v_or_b32_e32 v16, 0x800000, v4
	v_add_u32_e32 v14, 20, v12
	v_cndmask_b32_e32 v4, v16, v4, vcc
	v_lshlrev_b64 v[16:17], v14, -1
	v_not_b32_e32 v14, v17
	v_not_b32_e32 v16, v16
	v_and_b32_e32 v17, 0, v14
	v_and_b32_e32 v16, v4, v16
	v_add_u32_e32 v14, 19, v12
	v_lshrrev_b64 v[4:5], v12, v[4:5]
	v_lshlrev_b64 v[34:35], v14, 1
	v_lshrrev_b32_e32 v14, 23, v4
	v_add3_u32 v14, v12, v7, v14
	v_bfe_u32 v12, v4, 20, 1
	v_add_u32_e32 v12, -1, v12
	v_cmp_eq_u64_e32 vcc, v[16:17], v[34:35]
	v_cndmask_b32_e32 v12, 0, v12, vcc
	v_add_u32_e32 v12, v12, v4
	v_and_b32_e32 v12, 0xfffff, v12
	v_add_co_u32_e32 v4, vcc, v12, v4
	v_add_u32_e32 v7, 6, v14
	v_addc_co_u32_e32 v5, vcc, 0, v5, vcc
	v_cmp_ne_u32_e32 vcc, 0, v7
                                        ; implicit-def: $vgpr12
	s_and_saveexec_b64 s[0:1], vcc
	s_xor_b64 s[0:1], exec, s[0:1]
; %bb.30:
	s_mov_b64 s[18:19], 0xffffff
	v_add_u32_e32 v12, 7, v14
	v_cmp_lt_u64_e32 vcc, s[18:19], v[4:5]
	v_cndmask_b32_e32 v12, v7, v12, vcc
	v_cndmask_b32_e64 v7, 0, 1, vcc
	v_lshrrev_b64 v[4:5], v7, v[4:5]
; %bb.31:
	s_andn2_saveexec_b64 s[0:1], s[0:1]
; %bb.32:
	v_bfe_u32 v12, v4, 23, 1
; %bb.33:
	s_or_b64 exec, exec, s[0:1]
	v_lshrrev_b64 v[4:5], 20, v[4:5]
	v_cmp_gt_i32_e32 vcc, 16, v12
	v_cndmask_b32_e32 v5, 0, v5, vcc
	v_cndmask_b32_e32 v4, 7, v4, vcc
	v_cmp_ne_u32_e32 vcc, 0, v12
	v_cmp_ne_u64_e64 s[0:1], 0, v[4:5]
	s_or_b64 s[0:1], vcc, s[0:1]
                                        ; implicit-def: $vgpr7
	s_and_saveexec_b64 s[18:19], s[0:1]
	s_xor_b64 s[0:1], exec, s[18:19]
; %bb.34:
	v_min_i32_e32 v5, 15, v12
	v_lshl_or_b32 v5, v5, 3, v10
	v_and_or_b32 v7, v4, 7, v5
                                        ; implicit-def: $vgpr10
; %bb.35:
	s_andn2_saveexec_b64 s[0:1], s[0:1]
; %bb.36:
	v_mov_b32_e32 v7, v10
; %bb.37:
	s_or_b64 exec, exec, s[0:1]
.LBB1_38:
	s_or_b64 exec, exec, s[16:17]
.LBB1_39:
	s_andn2_saveexec_b64 s[0:1], s[14:15]
	s_or_b64 exec, exec, s[0:1]
                                        ; implicit-def: $vgpr12
                                        ; implicit-def: $vgpr4_vgpr5
.LBB1_40:
	s_andn2_saveexec_b64 s[0:1], s[8:9]
; %bb.41:
	s_movk_i32 s8, 0x7f
	v_or_b32_sdwa v10, v12, s8 dst_sel:DWORD dst_unused:UNUSED_PAD src0_sel:BYTE_3 src1_sel:DWORD
	v_cmp_eq_u64_e32 vcc, 0, v[4:5]
	v_cndmask_b32_e32 v7, v10, v7, vcc
; %bb.42:
	s_or_b64 exec, exec, s[0:1]
	v_mul_f32_e32 v4, v9, v32
	v_max_f32_e32 v4, 0xc3e00000, v4
	v_min_f32_e32 v14, 0x43e00000, v4
	v_mov_b32_e32 v5, 0
	s_movk_i32 s0, 0x80
	v_and_b32_sdwa v12, v14, s0 dst_sel:DWORD dst_unused:UNUSED_PAD src0_sel:BYTE_3 src1_sel:DWORD
	v_and_b32_e32 v16, 0x7f800000, v14
	v_mov_b32_e32 v17, v5
	s_mov_b64 s[0:1], 0x7f800000
	v_and_b32_e32 v4, 0x7fffff, v14
	v_or_b32_e32 v10, 0x7e, v12
	v_cmp_ne_u64_e32 vcc, s[0:1], v[16:17]
	s_and_saveexec_b64 s[0:1], vcc
	s_xor_b64 s[8:9], exec, s[0:1]
	s_cbranch_execz .LBB1_56
; %bb.43:
	v_and_b32_e32 v16, 0x7fffffff, v14
	v_mov_b32_e32 v17, v5
	s_mov_b64 s[0:1], 0x43e00001
	v_cmp_gt_u64_e32 vcc, s[0:1], v[16:17]
	s_and_saveexec_b64 s[0:1], vcc
	s_xor_b64 s[14:15], exec, s[0:1]
	s_cbranch_execz .LBB1_55
; %bb.44:
	v_cmp_ne_u32_e32 vcc, 0, v14
	v_mov_b32_e32 v10, 0
	s_and_saveexec_b64 s[16:17], vcc
	s_cbranch_execz .LBB1_54
; %bb.45:
	v_bfe_u32 v10, v14, 23, 8
	s_movk_i32 s0, 0x7a
	v_sub_u32_e32 v16, 0x79, v10
	v_cmp_gt_u32_e32 vcc, s0, v10
	v_add_u32_e32 v14, 0xffffff81, v10
	v_cndmask_b32_e32 v16, 0, v16, vcc
	v_mov_b32_e32 v32, 0xffffff82
	v_cmp_eq_u32_e32 vcc, 0, v10
	v_cndmask_b32_e32 v10, v14, v32, vcc
	v_mov_b32_e32 v14, 0x78
	v_cndmask_b32_e32 v14, v16, v14, vcc
	v_or_b32_e32 v17, 0x800000, v4
	v_add_u32_e32 v16, 20, v14
	v_cndmask_b32_e32 v4, v17, v4, vcc
	v_lshlrev_b64 v[16:17], v16, -1
	v_not_b32_e32 v16, v16
	v_and_b32_e32 v32, v4, v16
	v_add_u32_e32 v16, 19, v14
	v_lshrrev_b64 v[4:5], v14, v[4:5]
	v_not_b32_e32 v17, v17
	v_lshlrev_b64 v[34:35], v16, 1
	v_lshrrev_b32_e32 v16, 23, v4
	v_and_b32_e32 v33, 0, v17
	v_add3_u32 v16, v14, v10, v16
	v_bfe_u32 v14, v4, 20, 1
	v_add_u32_e32 v14, -1, v14
	v_cmp_eq_u64_e32 vcc, v[32:33], v[34:35]
	v_cndmask_b32_e32 v14, 0, v14, vcc
	v_add_u32_e32 v14, v14, v4
	v_and_b32_e32 v14, 0xfffff, v14
	v_add_co_u32_e32 v4, vcc, v14, v4
	v_add_u32_e32 v10, 6, v16
	v_addc_co_u32_e32 v5, vcc, 0, v5, vcc
	v_cmp_ne_u32_e32 vcc, 0, v10
                                        ; implicit-def: $vgpr14
	s_and_saveexec_b64 s[0:1], vcc
	s_xor_b64 s[0:1], exec, s[0:1]
; %bb.46:
	s_mov_b64 s[18:19], 0xffffff
	v_add_u32_e32 v14, 7, v16
	v_cmp_lt_u64_e32 vcc, s[18:19], v[4:5]
	v_cndmask_b32_e32 v14, v10, v14, vcc
	v_cndmask_b32_e64 v10, 0, 1, vcc
	v_lshrrev_b64 v[4:5], v10, v[4:5]
; %bb.47:
	s_andn2_saveexec_b64 s[0:1], s[0:1]
; %bb.48:
	v_bfe_u32 v14, v4, 23, 1
; %bb.49:
	s_or_b64 exec, exec, s[0:1]
	v_lshrrev_b64 v[4:5], 20, v[4:5]
	v_cmp_gt_i32_e32 vcc, 16, v14
	v_cndmask_b32_e32 v5, 0, v5, vcc
	v_cndmask_b32_e32 v4, 7, v4, vcc
	v_cmp_ne_u32_e32 vcc, 0, v14
	v_cmp_ne_u64_e64 s[0:1], 0, v[4:5]
	s_or_b64 s[0:1], vcc, s[0:1]
                                        ; implicit-def: $vgpr10
	s_and_saveexec_b64 s[18:19], s[0:1]
	s_xor_b64 s[0:1], exec, s[18:19]
; %bb.50:
	v_min_i32_e32 v5, 15, v14
	v_lshl_or_b32 v5, v5, 3, v12
	v_and_or_b32 v10, v4, 7, v5
                                        ; implicit-def: $vgpr12
; %bb.51:
	s_andn2_saveexec_b64 s[0:1], s[0:1]
; %bb.52:
	v_mov_b32_e32 v10, v12
; %bb.53:
	s_or_b64 exec, exec, s[0:1]
.LBB1_54:
	s_or_b64 exec, exec, s[16:17]
.LBB1_55:
	s_andn2_saveexec_b64 s[0:1], s[14:15]
	s_or_b64 exec, exec, s[0:1]
                                        ; implicit-def: $vgpr14
                                        ; implicit-def: $vgpr4_vgpr5
.LBB1_56:
	s_andn2_saveexec_b64 s[0:1], s[8:9]
; %bb.57:
	s_movk_i32 s8, 0x7f
	v_or_b32_sdwa v12, v14, s8 dst_sel:DWORD dst_unused:UNUSED_PAD src0_sel:BYTE_3 src1_sel:DWORD
	v_cmp_eq_u64_e32 vcc, 0, v[4:5]
	v_cndmask_b32_e32 v10, v12, v10, vcc
; %bb.58:
	s_or_b64 exec, exec, s[0:1]
	v_mul_f32_e32 v4, v9, v31
	v_max_f32_e32 v4, 0xc3e00000, v4
	v_min_f32_e32 v16, 0x43e00000, v4
	v_mov_b32_e32 v5, 0
	s_movk_i32 s0, 0x80
	v_and_b32_sdwa v14, v16, s0 dst_sel:DWORD dst_unused:UNUSED_PAD src0_sel:BYTE_3 src1_sel:DWORD
	v_and_b32_e32 v32, 0x7f800000, v16
	v_mov_b32_e32 v33, v5
	s_mov_b64 s[0:1], 0x7f800000
	v_and_b32_e32 v4, 0x7fffff, v16
	v_or_b32_e32 v12, 0x7e, v14
	v_cmp_ne_u64_e32 vcc, s[0:1], v[32:33]
	s_and_saveexec_b64 s[0:1], vcc
	s_xor_b64 s[8:9], exec, s[0:1]
	s_cbranch_execz .LBB1_72
; %bb.59:
	v_and_b32_e32 v32, 0x7fffffff, v16
	v_mov_b32_e32 v33, v5
	s_mov_b64 s[0:1], 0x43e00001
	v_cmp_gt_u64_e32 vcc, s[0:1], v[32:33]
	s_and_saveexec_b64 s[0:1], vcc
	s_xor_b64 s[14:15], exec, s[0:1]
	s_cbranch_execz .LBB1_71
; %bb.60:
	v_cmp_ne_u32_e32 vcc, 0, v16
	v_mov_b32_e32 v12, 0
	s_and_saveexec_b64 s[16:17], vcc
	s_cbranch_execz .LBB1_70
; %bb.61:
	v_bfe_u32 v12, v16, 23, 8
	s_movk_i32 s0, 0x7a
	v_sub_u32_e32 v17, 0x79, v12
	v_cmp_gt_u32_e32 vcc, s0, v12
	v_add_u32_e32 v16, 0xffffff81, v12
	v_cndmask_b32_e32 v17, 0, v17, vcc
	v_mov_b32_e32 v32, 0xffffff82
	v_cmp_eq_u32_e32 vcc, 0, v12
	v_cndmask_b32_e32 v12, v16, v32, vcc
	v_mov_b32_e32 v16, 0x78
	v_cndmask_b32_e32 v36, v17, v16, vcc
	v_add_u32_e32 v16, 20, v36
	v_or_b32_e32 v31, 0x800000, v4
	v_lshlrev_b64 v[16:17], v16, -1
	v_cndmask_b32_e32 v4, v31, v4, vcc
	v_not_b32_e32 v16, v16
	v_and_b32_e32 v32, v4, v16
	v_add_u32_e32 v16, 19, v36
	v_lshrrev_b64 v[4:5], v36, v[4:5]
	v_not_b32_e32 v17, v17
	v_lshlrev_b64 v[34:35], v16, 1
	v_lshrrev_b32_e32 v16, 23, v4
	v_and_b32_e32 v33, 0, v17
	v_add3_u32 v17, v36, v12, v16
	v_bfe_u32 v16, v4, 20, 1
	v_add_u32_e32 v16, -1, v16
	v_cmp_eq_u64_e32 vcc, v[32:33], v[34:35]
	v_cndmask_b32_e32 v16, 0, v16, vcc
	v_add_u32_e32 v16, v16, v4
	v_and_b32_e32 v16, 0xfffff, v16
	v_add_co_u32_e32 v4, vcc, v16, v4
	v_add_u32_e32 v12, 6, v17
	v_addc_co_u32_e32 v5, vcc, 0, v5, vcc
	v_cmp_ne_u32_e32 vcc, 0, v12
                                        ; implicit-def: $vgpr16
	s_and_saveexec_b64 s[0:1], vcc
	s_xor_b64 s[0:1], exec, s[0:1]
; %bb.62:
	s_mov_b64 s[18:19], 0xffffff
	v_add_u32_e32 v16, 7, v17
	v_cmp_lt_u64_e32 vcc, s[18:19], v[4:5]
	v_cndmask_b32_e32 v16, v12, v16, vcc
	v_cndmask_b32_e64 v12, 0, 1, vcc
	v_lshrrev_b64 v[4:5], v12, v[4:5]
; %bb.63:
	s_andn2_saveexec_b64 s[0:1], s[0:1]
; %bb.64:
	v_bfe_u32 v16, v4, 23, 1
; %bb.65:
	s_or_b64 exec, exec, s[0:1]
	v_lshrrev_b64 v[4:5], 20, v[4:5]
	v_cmp_gt_i32_e32 vcc, 16, v16
	v_cndmask_b32_e32 v5, 0, v5, vcc
	v_cndmask_b32_e32 v4, 7, v4, vcc
	v_cmp_ne_u32_e32 vcc, 0, v16
	v_cmp_ne_u64_e64 s[0:1], 0, v[4:5]
	s_or_b64 s[0:1], vcc, s[0:1]
                                        ; implicit-def: $vgpr12
	s_and_saveexec_b64 s[18:19], s[0:1]
	s_xor_b64 s[0:1], exec, s[18:19]
; %bb.66:
	v_min_i32_e32 v5, 15, v16
	v_lshl_or_b32 v5, v5, 3, v14
	v_and_or_b32 v12, v4, 7, v5
                                        ; implicit-def: $vgpr14
; %bb.67:
	s_andn2_saveexec_b64 s[0:1], s[0:1]
; %bb.68:
	v_mov_b32_e32 v12, v14
; %bb.69:
	s_or_b64 exec, exec, s[0:1]
.LBB1_70:
	s_or_b64 exec, exec, s[16:17]
.LBB1_71:
	s_andn2_saveexec_b64 s[0:1], s[14:15]
	s_or_b64 exec, exec, s[0:1]
                                        ; implicit-def: $vgpr16
                                        ; implicit-def: $vgpr4_vgpr5
.LBB1_72:
	s_andn2_saveexec_b64 s[0:1], s[8:9]
; %bb.73:
	s_movk_i32 s8, 0x7f
	v_or_b32_sdwa v14, v16, s8 dst_sel:DWORD dst_unused:UNUSED_PAD src0_sel:BYTE_3 src1_sel:DWORD
	v_cmp_eq_u64_e32 vcc, 0, v[4:5]
	v_cndmask_b32_e32 v12, v14, v12, vcc
; %bb.74:
	s_or_b64 exec, exec, s[0:1]
	v_mul_f32_e32 v4, v9, v30
	v_max_f32_e32 v4, 0xc3e00000, v4
	v_min_f32_e32 v17, 0x43e00000, v4
	v_mov_b32_e32 v5, 0
	s_movk_i32 s0, 0x80
	v_and_b32_sdwa v16, v17, s0 dst_sel:DWORD dst_unused:UNUSED_PAD src0_sel:BYTE_3 src1_sel:DWORD
	v_and_b32_e32 v30, 0x7f800000, v17
	v_mov_b32_e32 v31, v5
	s_mov_b64 s[0:1], 0x7f800000
	v_and_b32_e32 v4, 0x7fffff, v17
	v_or_b32_e32 v14, 0x7e, v16
	v_cmp_ne_u64_e32 vcc, s[0:1], v[30:31]
	s_and_saveexec_b64 s[0:1], vcc
	s_xor_b64 s[8:9], exec, s[0:1]
	s_cbranch_execz .LBB1_88
; %bb.75:
	v_and_b32_e32 v30, 0x7fffffff, v17
	v_mov_b32_e32 v31, v5
	s_mov_b64 s[0:1], 0x43e00001
	v_cmp_gt_u64_e32 vcc, s[0:1], v[30:31]
	s_and_saveexec_b64 s[0:1], vcc
	s_xor_b64 s[14:15], exec, s[0:1]
	s_cbranch_execz .LBB1_87
; %bb.76:
	v_cmp_ne_u32_e32 vcc, 0, v17
	v_mov_b32_e32 v14, 0
	s_and_saveexec_b64 s[16:17], vcc
	s_cbranch_execz .LBB1_86
; %bb.77:
	v_bfe_u32 v14, v17, 23, 8
	s_movk_i32 s0, 0x7a
	v_sub_u32_e32 v30, 0x79, v14
	v_cmp_gt_u32_e32 vcc, s0, v14
	v_add_u32_e32 v17, 0xffffff81, v14
	v_cndmask_b32_e32 v30, 0, v30, vcc
	v_mov_b32_e32 v32, 0xffffff82
	v_cmp_eq_u32_e32 vcc, 0, v14
	v_cndmask_b32_e32 v14, v17, v32, vcc
	v_mov_b32_e32 v17, 0x78
	v_cndmask_b32_e32 v17, v30, v17, vcc
	v_or_b32_e32 v31, 0x800000, v4
	v_add_u32_e32 v30, 20, v17
	v_cndmask_b32_e32 v4, v31, v4, vcc
	v_lshlrev_b64 v[30:31], v30, -1
	v_not_b32_e32 v30, v30
	v_and_b32_e32 v32, v4, v30
	v_add_u32_e32 v30, 19, v17
	v_lshrrev_b64 v[4:5], v17, v[4:5]
	v_not_b32_e32 v31, v31
	v_lshlrev_b64 v[34:35], v30, 1
	v_lshrrev_b32_e32 v30, 23, v4
	v_and_b32_e32 v33, 0, v31
	v_add3_u32 v30, v17, v14, v30
	v_bfe_u32 v17, v4, 20, 1
	v_add_u32_e32 v17, -1, v17
	v_cmp_eq_u64_e32 vcc, v[32:33], v[34:35]
	v_cndmask_b32_e32 v17, 0, v17, vcc
	v_add_u32_e32 v17, v17, v4
	v_and_b32_e32 v17, 0xfffff, v17
	v_add_co_u32_e32 v4, vcc, v17, v4
	v_add_u32_e32 v14, 6, v30
	v_addc_co_u32_e32 v5, vcc, 0, v5, vcc
	v_cmp_ne_u32_e32 vcc, 0, v14
                                        ; implicit-def: $vgpr17
	s_and_saveexec_b64 s[0:1], vcc
	s_xor_b64 s[0:1], exec, s[0:1]
; %bb.78:
	s_mov_b64 s[18:19], 0xffffff
	v_add_u32_e32 v17, 7, v30
	v_cmp_lt_u64_e32 vcc, s[18:19], v[4:5]
	v_cndmask_b32_e32 v17, v14, v17, vcc
	v_cndmask_b32_e64 v14, 0, 1, vcc
	v_lshrrev_b64 v[4:5], v14, v[4:5]
; %bb.79:
	s_andn2_saveexec_b64 s[0:1], s[0:1]
; %bb.80:
	v_bfe_u32 v17, v4, 23, 1
; %bb.81:
	s_or_b64 exec, exec, s[0:1]
	v_lshrrev_b64 v[4:5], 20, v[4:5]
	v_cmp_gt_i32_e32 vcc, 16, v17
	v_cndmask_b32_e32 v5, 0, v5, vcc
	v_cndmask_b32_e32 v4, 7, v4, vcc
	v_cmp_ne_u32_e32 vcc, 0, v17
	v_cmp_ne_u64_e64 s[0:1], 0, v[4:5]
	s_or_b64 s[0:1], vcc, s[0:1]
                                        ; implicit-def: $vgpr14
	s_and_saveexec_b64 s[18:19], s[0:1]
	s_xor_b64 s[0:1], exec, s[18:19]
; %bb.82:
	v_min_i32_e32 v5, 15, v17
	v_lshl_or_b32 v5, v5, 3, v16
	v_and_or_b32 v14, v4, 7, v5
                                        ; implicit-def: $vgpr16
; %bb.83:
	s_andn2_saveexec_b64 s[0:1], s[0:1]
; %bb.84:
	v_mov_b32_e32 v14, v16
; %bb.85:
	s_or_b64 exec, exec, s[0:1]
.LBB1_86:
	s_or_b64 exec, exec, s[16:17]
.LBB1_87:
	s_andn2_saveexec_b64 s[0:1], s[14:15]
	s_or_b64 exec, exec, s[0:1]
                                        ; implicit-def: $vgpr17
                                        ; implicit-def: $vgpr4_vgpr5
.LBB1_88:
	s_andn2_saveexec_b64 s[0:1], s[8:9]
; %bb.89:
	s_movk_i32 s8, 0x7f
	v_or_b32_sdwa v16, v17, s8 dst_sel:DWORD dst_unused:UNUSED_PAD src0_sel:BYTE_3 src1_sel:DWORD
	v_cmp_eq_u64_e32 vcc, 0, v[4:5]
	v_cndmask_b32_e32 v14, v16, v14, vcc
; %bb.90:
	s_or_b64 exec, exec, s[0:1]
	v_mul_f32_e32 v4, v9, v29
	v_max_f32_e32 v4, 0xc3e00000, v4
	v_min_f32_e32 v29, 0x43e00000, v4
	v_mov_b32_e32 v5, 0
	s_movk_i32 s0, 0x80
	v_and_b32_sdwa v17, v29, s0 dst_sel:DWORD dst_unused:UNUSED_PAD src0_sel:BYTE_3 src1_sel:DWORD
	v_and_b32_e32 v30, 0x7f800000, v29
	v_mov_b32_e32 v31, v5
	s_mov_b64 s[0:1], 0x7f800000
	v_and_b32_e32 v4, 0x7fffff, v29
	v_or_b32_e32 v16, 0x7e, v17
	v_cmp_ne_u64_e32 vcc, s[0:1], v[30:31]
	s_and_saveexec_b64 s[0:1], vcc
	s_xor_b64 s[8:9], exec, s[0:1]
	s_cbranch_execz .LBB1_104
; %bb.91:
	v_and_b32_e32 v30, 0x7fffffff, v29
	v_mov_b32_e32 v31, v5
	s_mov_b64 s[0:1], 0x43e00001
	v_cmp_gt_u64_e32 vcc, s[0:1], v[30:31]
	s_and_saveexec_b64 s[0:1], vcc
	s_xor_b64 s[14:15], exec, s[0:1]
	s_cbranch_execz .LBB1_103
; %bb.92:
	v_cmp_ne_u32_e32 vcc, 0, v29
	v_mov_b32_e32 v16, 0
	s_and_saveexec_b64 s[16:17], vcc
	s_cbranch_execz .LBB1_102
; %bb.93:
	v_bfe_u32 v16, v29, 23, 8
	s_movk_i32 s0, 0x7a
	v_sub_u32_e32 v30, 0x79, v16
	v_cmp_gt_u32_e32 vcc, s0, v16
	v_add_u32_e32 v29, 0xffffff81, v16
	v_cndmask_b32_e32 v30, 0, v30, vcc
	v_mov_b32_e32 v32, 0xffffff82
	v_cmp_eq_u32_e32 vcc, 0, v16
	v_cndmask_b32_e32 v16, v29, v32, vcc
	v_mov_b32_e32 v29, 0x78
	v_cndmask_b32_e32 v29, v30, v29, vcc
	v_or_b32_e32 v31, 0x800000, v4
	v_add_u32_e32 v30, 20, v29
	v_cndmask_b32_e32 v4, v31, v4, vcc
	v_lshlrev_b64 v[30:31], v30, -1
	v_not_b32_e32 v30, v30
	v_and_b32_e32 v32, v4, v30
	v_add_u32_e32 v30, 19, v29
	v_lshrrev_b64 v[4:5], v29, v[4:5]
	v_not_b32_e32 v31, v31
	v_lshlrev_b64 v[34:35], v30, 1
	v_lshrrev_b32_e32 v30, 23, v4
	v_and_b32_e32 v33, 0, v31
	v_add3_u32 v30, v29, v16, v30
	v_bfe_u32 v29, v4, 20, 1
	v_add_u32_e32 v29, -1, v29
	v_cmp_eq_u64_e32 vcc, v[32:33], v[34:35]
	v_cndmask_b32_e32 v29, 0, v29, vcc
	v_add_u32_e32 v29, v29, v4
	v_and_b32_e32 v29, 0xfffff, v29
	v_add_co_u32_e32 v4, vcc, v29, v4
	v_add_u32_e32 v16, 6, v30
	v_addc_co_u32_e32 v5, vcc, 0, v5, vcc
	v_cmp_ne_u32_e32 vcc, 0, v16
                                        ; implicit-def: $vgpr29
	s_and_saveexec_b64 s[0:1], vcc
	s_xor_b64 s[0:1], exec, s[0:1]
; %bb.94:
	s_mov_b64 s[18:19], 0xffffff
	v_add_u32_e32 v29, 7, v30
	v_cmp_lt_u64_e32 vcc, s[18:19], v[4:5]
	v_cndmask_b32_e32 v29, v16, v29, vcc
	v_cndmask_b32_e64 v16, 0, 1, vcc
	v_lshrrev_b64 v[4:5], v16, v[4:5]
; %bb.95:
	s_andn2_saveexec_b64 s[0:1], s[0:1]
; %bb.96:
	v_bfe_u32 v29, v4, 23, 1
; %bb.97:
	s_or_b64 exec, exec, s[0:1]
	v_lshrrev_b64 v[4:5], 20, v[4:5]
	v_cmp_gt_i32_e32 vcc, 16, v29
	v_cndmask_b32_e32 v5, 0, v5, vcc
	v_cndmask_b32_e32 v4, 7, v4, vcc
	v_cmp_ne_u32_e32 vcc, 0, v29
	v_cmp_ne_u64_e64 s[0:1], 0, v[4:5]
	s_or_b64 s[0:1], vcc, s[0:1]
                                        ; implicit-def: $vgpr16
	s_and_saveexec_b64 s[18:19], s[0:1]
	s_xor_b64 s[0:1], exec, s[18:19]
; %bb.98:
	v_min_i32_e32 v5, 15, v29
	v_lshl_or_b32 v5, v5, 3, v17
	v_and_or_b32 v16, v4, 7, v5
                                        ; implicit-def: $vgpr17
; %bb.99:
	s_andn2_saveexec_b64 s[0:1], s[0:1]
; %bb.100:
	v_mov_b32_e32 v16, v17
; %bb.101:
	s_or_b64 exec, exec, s[0:1]
.LBB1_102:
	s_or_b64 exec, exec, s[16:17]
.LBB1_103:
	s_andn2_saveexec_b64 s[0:1], s[14:15]
	s_or_b64 exec, exec, s[0:1]
                                        ; implicit-def: $vgpr29
                                        ; implicit-def: $vgpr4_vgpr5
.LBB1_104:
	s_andn2_saveexec_b64 s[0:1], s[8:9]
; %bb.105:
	s_movk_i32 s8, 0x7f
	v_or_b32_sdwa v17, v29, s8 dst_sel:DWORD dst_unused:UNUSED_PAD src0_sel:BYTE_3 src1_sel:DWORD
	v_cmp_eq_u64_e32 vcc, 0, v[4:5]
	v_cndmask_b32_e32 v16, v17, v16, vcc
; %bb.106:
	s_or_b64 exec, exec, s[0:1]
	v_mul_f32_e32 v4, v9, v28
	v_max_f32_e32 v4, 0xc3e00000, v4
	v_min_f32_e32 v29, 0x43e00000, v4
	v_mov_b32_e32 v5, 0
	s_movk_i32 s0, 0x80
	v_and_b32_sdwa v28, v29, s0 dst_sel:DWORD dst_unused:UNUSED_PAD src0_sel:BYTE_3 src1_sel:DWORD
	v_and_b32_e32 v30, 0x7f800000, v29
	v_mov_b32_e32 v31, v5
	s_mov_b64 s[0:1], 0x7f800000
	v_and_b32_e32 v4, 0x7fffff, v29
	v_or_b32_e32 v17, 0x7e, v28
	v_cmp_ne_u64_e32 vcc, s[0:1], v[30:31]
	s_and_saveexec_b64 s[0:1], vcc
	s_xor_b64 s[8:9], exec, s[0:1]
	s_cbranch_execz .LBB1_120
; %bb.107:
	v_and_b32_e32 v30, 0x7fffffff, v29
	v_mov_b32_e32 v31, v5
	s_mov_b64 s[0:1], 0x43e00001
	v_cmp_gt_u64_e32 vcc, s[0:1], v[30:31]
	s_and_saveexec_b64 s[0:1], vcc
	s_xor_b64 s[14:15], exec, s[0:1]
	s_cbranch_execz .LBB1_119
; %bb.108:
	v_cmp_ne_u32_e32 vcc, 0, v29
	v_mov_b32_e32 v17, 0
	s_and_saveexec_b64 s[16:17], vcc
	s_cbranch_execz .LBB1_118
; %bb.109:
	v_bfe_u32 v17, v29, 23, 8
	s_movk_i32 s0, 0x7a
	v_sub_u32_e32 v30, 0x79, v17
	v_cmp_gt_u32_e32 vcc, s0, v17
	v_add_u32_e32 v29, 0xffffff81, v17
	v_cndmask_b32_e32 v30, 0, v30, vcc
	v_mov_b32_e32 v32, 0xffffff82
	v_cmp_eq_u32_e32 vcc, 0, v17
	v_cndmask_b32_e32 v17, v29, v32, vcc
	v_mov_b32_e32 v29, 0x78
	v_cndmask_b32_e32 v29, v30, v29, vcc
	v_or_b32_e32 v31, 0x800000, v4
	v_add_u32_e32 v30, 20, v29
	v_cndmask_b32_e32 v4, v31, v4, vcc
	v_lshlrev_b64 v[30:31], v30, -1
	v_not_b32_e32 v30, v30
	v_and_b32_e32 v32, v4, v30
	v_add_u32_e32 v30, 19, v29
	v_lshrrev_b64 v[4:5], v29, v[4:5]
	v_not_b32_e32 v31, v31
	v_lshlrev_b64 v[34:35], v30, 1
	v_lshrrev_b32_e32 v30, 23, v4
	v_and_b32_e32 v33, 0, v31
	v_add3_u32 v30, v29, v17, v30
	v_bfe_u32 v29, v4, 20, 1
	v_add_u32_e32 v29, -1, v29
	v_cmp_eq_u64_e32 vcc, v[32:33], v[34:35]
	v_cndmask_b32_e32 v29, 0, v29, vcc
	v_add_u32_e32 v29, v29, v4
	v_and_b32_e32 v29, 0xfffff, v29
	v_add_co_u32_e32 v4, vcc, v29, v4
	v_add_u32_e32 v17, 6, v30
	v_addc_co_u32_e32 v5, vcc, 0, v5, vcc
	v_cmp_ne_u32_e32 vcc, 0, v17
                                        ; implicit-def: $vgpr29
	s_and_saveexec_b64 s[0:1], vcc
	s_xor_b64 s[0:1], exec, s[0:1]
; %bb.110:
	s_mov_b64 s[18:19], 0xffffff
	v_add_u32_e32 v29, 7, v30
	v_cmp_lt_u64_e32 vcc, s[18:19], v[4:5]
	v_cndmask_b32_e32 v29, v17, v29, vcc
	v_cndmask_b32_e64 v17, 0, 1, vcc
	v_lshrrev_b64 v[4:5], v17, v[4:5]
; %bb.111:
	s_andn2_saveexec_b64 s[0:1], s[0:1]
; %bb.112:
	v_bfe_u32 v29, v4, 23, 1
; %bb.113:
	s_or_b64 exec, exec, s[0:1]
	v_lshrrev_b64 v[4:5], 20, v[4:5]
	v_cmp_gt_i32_e32 vcc, 16, v29
	v_cndmask_b32_e32 v5, 0, v5, vcc
	v_cndmask_b32_e32 v4, 7, v4, vcc
	v_cmp_ne_u32_e32 vcc, 0, v29
	v_cmp_ne_u64_e64 s[0:1], 0, v[4:5]
	s_or_b64 s[0:1], vcc, s[0:1]
                                        ; implicit-def: $vgpr17
	s_and_saveexec_b64 s[18:19], s[0:1]
	s_xor_b64 s[0:1], exec, s[18:19]
; %bb.114:
	v_min_i32_e32 v5, 15, v29
	v_lshl_or_b32 v5, v5, 3, v28
	v_and_or_b32 v17, v4, 7, v5
                                        ; implicit-def: $vgpr28
; %bb.115:
	s_andn2_saveexec_b64 s[0:1], s[0:1]
; %bb.116:
	v_mov_b32_e32 v17, v28
; %bb.117:
	s_or_b64 exec, exec, s[0:1]
.LBB1_118:
	s_or_b64 exec, exec, s[16:17]
.LBB1_119:
	s_andn2_saveexec_b64 s[0:1], s[14:15]
	s_or_b64 exec, exec, s[0:1]
                                        ; implicit-def: $vgpr29
                                        ; implicit-def: $vgpr4_vgpr5
.LBB1_120:
	s_andn2_saveexec_b64 s[0:1], s[8:9]
; %bb.121:
	s_movk_i32 s8, 0x7f
	v_or_b32_sdwa v28, v29, s8 dst_sel:DWORD dst_unused:UNUSED_PAD src0_sel:BYTE_3 src1_sel:DWORD
	v_cmp_eq_u64_e32 vcc, 0, v[4:5]
	v_cndmask_b32_e32 v17, v28, v17, vcc
; %bb.122:
	s_or_b64 exec, exec, s[0:1]
	v_mul_f32_e32 v4, v9, v24
	v_max_f32_e32 v4, 0xc3e00000, v4
	v_min_f32_e32 v29, 0x43e00000, v4
	v_mov_b32_e32 v5, 0
	s_movk_i32 s0, 0x80
	v_and_b32_sdwa v28, v29, s0 dst_sel:DWORD dst_unused:UNUSED_PAD src0_sel:BYTE_3 src1_sel:DWORD
	v_and_b32_e32 v30, 0x7f800000, v29
	v_mov_b32_e32 v31, v5
	s_mov_b64 s[0:1], 0x7f800000
	v_and_b32_e32 v4, 0x7fffff, v29
	v_or_b32_e32 v24, 0x7e, v28
	v_cmp_ne_u64_e32 vcc, s[0:1], v[30:31]
	s_and_saveexec_b64 s[0:1], vcc
	s_xor_b64 s[8:9], exec, s[0:1]
	s_cbranch_execz .LBB1_136
; %bb.123:
	v_and_b32_e32 v30, 0x7fffffff, v29
	v_mov_b32_e32 v31, v5
	s_mov_b64 s[0:1], 0x43e00001
	v_cmp_gt_u64_e32 vcc, s[0:1], v[30:31]
	s_and_saveexec_b64 s[0:1], vcc
	s_xor_b64 s[14:15], exec, s[0:1]
	s_cbranch_execz .LBB1_135
; %bb.124:
	v_cmp_ne_u32_e32 vcc, 0, v29
	v_mov_b32_e32 v24, 0
	s_and_saveexec_b64 s[16:17], vcc
	s_cbranch_execz .LBB1_134
; %bb.125:
	v_bfe_u32 v24, v29, 23, 8
	s_movk_i32 s0, 0x7a
	v_sub_u32_e32 v30, 0x79, v24
	v_cmp_gt_u32_e32 vcc, s0, v24
	v_add_u32_e32 v29, 0xffffff81, v24
	v_cndmask_b32_e32 v30, 0, v30, vcc
	v_mov_b32_e32 v32, 0xffffff82
	v_cmp_eq_u32_e32 vcc, 0, v24
	v_cndmask_b32_e32 v24, v29, v32, vcc
	v_mov_b32_e32 v29, 0x78
	v_cndmask_b32_e32 v29, v30, v29, vcc
	v_or_b32_e32 v31, 0x800000, v4
	v_add_u32_e32 v30, 20, v29
	v_cndmask_b32_e32 v4, v31, v4, vcc
	v_lshlrev_b64 v[30:31], v30, -1
	v_not_b32_e32 v30, v30
	v_and_b32_e32 v32, v4, v30
	v_add_u32_e32 v30, 19, v29
	v_lshrrev_b64 v[4:5], v29, v[4:5]
	v_not_b32_e32 v31, v31
	v_lshlrev_b64 v[34:35], v30, 1
	v_lshrrev_b32_e32 v30, 23, v4
	v_and_b32_e32 v33, 0, v31
	v_add3_u32 v30, v29, v24, v30
	v_bfe_u32 v29, v4, 20, 1
	v_add_u32_e32 v29, -1, v29
	v_cmp_eq_u64_e32 vcc, v[32:33], v[34:35]
	v_cndmask_b32_e32 v29, 0, v29, vcc
	v_add_u32_e32 v29, v29, v4
	v_and_b32_e32 v29, 0xfffff, v29
	v_add_co_u32_e32 v4, vcc, v29, v4
	v_add_u32_e32 v24, 6, v30
	v_addc_co_u32_e32 v5, vcc, 0, v5, vcc
	v_cmp_ne_u32_e32 vcc, 0, v24
                                        ; implicit-def: $vgpr29
	s_and_saveexec_b64 s[0:1], vcc
	s_xor_b64 s[0:1], exec, s[0:1]
; %bb.126:
	s_mov_b64 s[18:19], 0xffffff
	v_add_u32_e32 v29, 7, v30
	v_cmp_lt_u64_e32 vcc, s[18:19], v[4:5]
	v_cndmask_b32_e32 v29, v24, v29, vcc
	v_cndmask_b32_e64 v24, 0, 1, vcc
	v_lshrrev_b64 v[4:5], v24, v[4:5]
; %bb.127:
	s_andn2_saveexec_b64 s[0:1], s[0:1]
; %bb.128:
	v_bfe_u32 v29, v4, 23, 1
; %bb.129:
	s_or_b64 exec, exec, s[0:1]
	v_lshrrev_b64 v[4:5], 20, v[4:5]
	v_cmp_gt_i32_e32 vcc, 16, v29
	v_cndmask_b32_e32 v5, 0, v5, vcc
	v_cndmask_b32_e32 v4, 7, v4, vcc
	v_cmp_ne_u32_e32 vcc, 0, v29
	v_cmp_ne_u64_e64 s[0:1], 0, v[4:5]
	s_or_b64 s[0:1], vcc, s[0:1]
                                        ; implicit-def: $vgpr24
	s_and_saveexec_b64 s[18:19], s[0:1]
	s_xor_b64 s[0:1], exec, s[18:19]
; %bb.130:
	v_min_i32_e32 v5, 15, v29
	v_lshl_or_b32 v5, v5, 3, v28
	v_and_or_b32 v24, v4, 7, v5
                                        ; implicit-def: $vgpr28
; %bb.131:
	s_andn2_saveexec_b64 s[0:1], s[0:1]
; %bb.132:
	v_mov_b32_e32 v24, v28
; %bb.133:
	s_or_b64 exec, exec, s[0:1]
.LBB1_134:
	s_or_b64 exec, exec, s[16:17]
.LBB1_135:
	s_andn2_saveexec_b64 s[0:1], s[14:15]
	s_or_b64 exec, exec, s[0:1]
                                        ; implicit-def: $vgpr29
                                        ; implicit-def: $vgpr4_vgpr5
.LBB1_136:
	s_andn2_saveexec_b64 s[0:1], s[8:9]
; %bb.137:
	s_movk_i32 s8, 0x7f
	v_or_b32_sdwa v28, v29, s8 dst_sel:DWORD dst_unused:UNUSED_PAD src0_sel:BYTE_3 src1_sel:DWORD
	v_cmp_eq_u64_e32 vcc, 0, v[4:5]
	v_cndmask_b32_e32 v24, v28, v24, vcc
; %bb.138:
	s_or_b64 exec, exec, s[0:1]
	v_mul_f32_e32 v4, v9, v26
	v_max_f32_e32 v4, 0xc3e00000, v4
	v_min_f32_e32 v29, 0x43e00000, v4
	v_mov_b32_e32 v5, 0
	s_movk_i32 s0, 0x80
	v_and_b32_sdwa v28, v29, s0 dst_sel:DWORD dst_unused:UNUSED_PAD src0_sel:BYTE_3 src1_sel:DWORD
	v_and_b32_e32 v30, 0x7f800000, v29
	v_mov_b32_e32 v31, v5
	s_mov_b64 s[0:1], 0x7f800000
	v_and_b32_e32 v4, 0x7fffff, v29
	v_or_b32_e32 v26, 0x7e, v28
	v_cmp_ne_u64_e32 vcc, s[0:1], v[30:31]
	s_and_saveexec_b64 s[0:1], vcc
	s_xor_b64 s[8:9], exec, s[0:1]
	s_cbranch_execz .LBB1_152
; %bb.139:
	v_and_b32_e32 v30, 0x7fffffff, v29
	v_mov_b32_e32 v31, v5
	s_mov_b64 s[0:1], 0x43e00001
	v_cmp_gt_u64_e32 vcc, s[0:1], v[30:31]
	s_and_saveexec_b64 s[0:1], vcc
	s_xor_b64 s[14:15], exec, s[0:1]
	s_cbranch_execz .LBB1_151
; %bb.140:
	v_cmp_ne_u32_e32 vcc, 0, v29
	v_mov_b32_e32 v26, 0
	s_and_saveexec_b64 s[16:17], vcc
	s_cbranch_execz .LBB1_150
; %bb.141:
	v_bfe_u32 v26, v29, 23, 8
	s_movk_i32 s0, 0x7a
	v_sub_u32_e32 v30, 0x79, v26
	v_cmp_gt_u32_e32 vcc, s0, v26
	v_add_u32_e32 v29, 0xffffff81, v26
	v_cndmask_b32_e32 v30, 0, v30, vcc
	v_mov_b32_e32 v32, 0xffffff82
	v_cmp_eq_u32_e32 vcc, 0, v26
	v_cndmask_b32_e32 v26, v29, v32, vcc
	v_mov_b32_e32 v29, 0x78
	v_cndmask_b32_e32 v29, v30, v29, vcc
	v_or_b32_e32 v31, 0x800000, v4
	v_add_u32_e32 v30, 20, v29
	v_cndmask_b32_e32 v4, v31, v4, vcc
	v_lshlrev_b64 v[30:31], v30, -1
	v_not_b32_e32 v30, v30
	v_and_b32_e32 v32, v4, v30
	v_add_u32_e32 v30, 19, v29
	v_lshrrev_b64 v[4:5], v29, v[4:5]
	v_not_b32_e32 v31, v31
	v_lshlrev_b64 v[34:35], v30, 1
	v_lshrrev_b32_e32 v30, 23, v4
	v_and_b32_e32 v33, 0, v31
	v_add3_u32 v30, v29, v26, v30
	v_bfe_u32 v29, v4, 20, 1
	v_add_u32_e32 v29, -1, v29
	v_cmp_eq_u64_e32 vcc, v[32:33], v[34:35]
	v_cndmask_b32_e32 v29, 0, v29, vcc
	v_add_u32_e32 v29, v29, v4
	v_and_b32_e32 v29, 0xfffff, v29
	v_add_co_u32_e32 v4, vcc, v29, v4
	v_add_u32_e32 v26, 6, v30
	v_addc_co_u32_e32 v5, vcc, 0, v5, vcc
	v_cmp_ne_u32_e32 vcc, 0, v26
                                        ; implicit-def: $vgpr29
	s_and_saveexec_b64 s[0:1], vcc
	s_xor_b64 s[0:1], exec, s[0:1]
; %bb.142:
	s_mov_b64 s[18:19], 0xffffff
	v_add_u32_e32 v29, 7, v30
	v_cmp_lt_u64_e32 vcc, s[18:19], v[4:5]
	v_cndmask_b32_e32 v29, v26, v29, vcc
	v_cndmask_b32_e64 v26, 0, 1, vcc
	v_lshrrev_b64 v[4:5], v26, v[4:5]
; %bb.143:
	s_andn2_saveexec_b64 s[0:1], s[0:1]
; %bb.144:
	v_bfe_u32 v29, v4, 23, 1
; %bb.145:
	s_or_b64 exec, exec, s[0:1]
	v_lshrrev_b64 v[4:5], 20, v[4:5]
	v_cmp_gt_i32_e32 vcc, 16, v29
	v_cndmask_b32_e32 v5, 0, v5, vcc
	v_cndmask_b32_e32 v4, 7, v4, vcc
	v_cmp_ne_u32_e32 vcc, 0, v29
	v_cmp_ne_u64_e64 s[0:1], 0, v[4:5]
	s_or_b64 s[0:1], vcc, s[0:1]
                                        ; implicit-def: $vgpr26
	s_and_saveexec_b64 s[18:19], s[0:1]
	s_xor_b64 s[0:1], exec, s[18:19]
; %bb.146:
	v_min_i32_e32 v5, 15, v29
	v_lshl_or_b32 v5, v5, 3, v28
	v_and_or_b32 v26, v4, 7, v5
                                        ; implicit-def: $vgpr28
; %bb.147:
	s_andn2_saveexec_b64 s[0:1], s[0:1]
; %bb.148:
	v_mov_b32_e32 v26, v28
; %bb.149:
	s_or_b64 exec, exec, s[0:1]
.LBB1_150:
	s_or_b64 exec, exec, s[16:17]
.LBB1_151:
	s_andn2_saveexec_b64 s[0:1], s[14:15]
	s_or_b64 exec, exec, s[0:1]
                                        ; implicit-def: $vgpr29
                                        ; implicit-def: $vgpr4_vgpr5
.LBB1_152:
	s_andn2_saveexec_b64 s[0:1], s[8:9]
; %bb.153:
	s_movk_i32 s8, 0x7f
	v_or_b32_sdwa v28, v29, s8 dst_sel:DWORD dst_unused:UNUSED_PAD src0_sel:BYTE_3 src1_sel:DWORD
	v_cmp_eq_u64_e32 vcc, 0, v[4:5]
	v_cndmask_b32_e32 v26, v28, v26, vcc
; %bb.154:
	s_or_b64 exec, exec, s[0:1]
	v_mul_f32_e32 v4, v9, v27
	v_max_f32_e32 v4, 0xc3e00000, v4
	v_min_f32_e32 v29, 0x43e00000, v4
	v_mov_b32_e32 v5, 0
	s_movk_i32 s0, 0x80
	v_and_b32_sdwa v28, v29, s0 dst_sel:DWORD dst_unused:UNUSED_PAD src0_sel:BYTE_3 src1_sel:DWORD
	v_and_b32_e32 v30, 0x7f800000, v29
	v_mov_b32_e32 v31, v5
	s_mov_b64 s[0:1], 0x7f800000
	v_and_b32_e32 v4, 0x7fffff, v29
	v_or_b32_e32 v27, 0x7e, v28
	v_cmp_ne_u64_e32 vcc, s[0:1], v[30:31]
	s_and_saveexec_b64 s[0:1], vcc
	s_xor_b64 s[8:9], exec, s[0:1]
	s_cbranch_execz .LBB1_168
; %bb.155:
	v_and_b32_e32 v30, 0x7fffffff, v29
	v_mov_b32_e32 v31, v5
	s_mov_b64 s[0:1], 0x43e00001
	v_cmp_gt_u64_e32 vcc, s[0:1], v[30:31]
	s_and_saveexec_b64 s[0:1], vcc
	s_xor_b64 s[14:15], exec, s[0:1]
	s_cbranch_execz .LBB1_167
; %bb.156:
	v_cmp_ne_u32_e32 vcc, 0, v29
	v_mov_b32_e32 v27, 0
	s_and_saveexec_b64 s[16:17], vcc
	s_cbranch_execz .LBB1_166
; %bb.157:
	v_bfe_u32 v27, v29, 23, 8
	s_movk_i32 s0, 0x7a
	v_sub_u32_e32 v30, 0x79, v27
	v_cmp_gt_u32_e32 vcc, s0, v27
	v_add_u32_e32 v29, 0xffffff81, v27
	v_cndmask_b32_e32 v30, 0, v30, vcc
	v_mov_b32_e32 v32, 0xffffff82
	v_cmp_eq_u32_e32 vcc, 0, v27
	v_cndmask_b32_e32 v27, v29, v32, vcc
	v_mov_b32_e32 v29, 0x78
	v_cndmask_b32_e32 v29, v30, v29, vcc
	v_or_b32_e32 v31, 0x800000, v4
	v_add_u32_e32 v30, 20, v29
	v_cndmask_b32_e32 v4, v31, v4, vcc
	v_lshlrev_b64 v[30:31], v30, -1
	v_not_b32_e32 v30, v30
	v_and_b32_e32 v32, v4, v30
	v_add_u32_e32 v30, 19, v29
	v_lshrrev_b64 v[4:5], v29, v[4:5]
	v_not_b32_e32 v31, v31
	v_lshlrev_b64 v[34:35], v30, 1
	v_lshrrev_b32_e32 v30, 23, v4
	v_and_b32_e32 v33, 0, v31
	v_add3_u32 v30, v29, v27, v30
	v_bfe_u32 v29, v4, 20, 1
	v_add_u32_e32 v29, -1, v29
	v_cmp_eq_u64_e32 vcc, v[32:33], v[34:35]
	v_cndmask_b32_e32 v29, 0, v29, vcc
	v_add_u32_e32 v29, v29, v4
	v_and_b32_e32 v29, 0xfffff, v29
	v_add_co_u32_e32 v4, vcc, v29, v4
	v_add_u32_e32 v27, 6, v30
	v_addc_co_u32_e32 v5, vcc, 0, v5, vcc
	v_cmp_ne_u32_e32 vcc, 0, v27
                                        ; implicit-def: $vgpr29
	s_and_saveexec_b64 s[0:1], vcc
	s_xor_b64 s[0:1], exec, s[0:1]
; %bb.158:
	s_mov_b64 s[18:19], 0xffffff
	v_add_u32_e32 v29, 7, v30
	v_cmp_lt_u64_e32 vcc, s[18:19], v[4:5]
	v_cndmask_b32_e32 v29, v27, v29, vcc
	v_cndmask_b32_e64 v27, 0, 1, vcc
	v_lshrrev_b64 v[4:5], v27, v[4:5]
; %bb.159:
	s_andn2_saveexec_b64 s[0:1], s[0:1]
; %bb.160:
	v_bfe_u32 v29, v4, 23, 1
; %bb.161:
	s_or_b64 exec, exec, s[0:1]
	v_lshrrev_b64 v[4:5], 20, v[4:5]
	v_cmp_gt_i32_e32 vcc, 16, v29
	v_cndmask_b32_e32 v5, 0, v5, vcc
	v_cndmask_b32_e32 v4, 7, v4, vcc
	v_cmp_ne_u32_e32 vcc, 0, v29
	v_cmp_ne_u64_e64 s[0:1], 0, v[4:5]
	s_or_b64 s[0:1], vcc, s[0:1]
                                        ; implicit-def: $vgpr27
	s_and_saveexec_b64 s[18:19], s[0:1]
	s_xor_b64 s[0:1], exec, s[18:19]
; %bb.162:
	v_min_i32_e32 v5, 15, v29
	v_lshl_or_b32 v5, v5, 3, v28
	v_and_or_b32 v27, v4, 7, v5
                                        ; implicit-def: $vgpr28
; %bb.163:
	s_andn2_saveexec_b64 s[0:1], s[0:1]
; %bb.164:
	v_mov_b32_e32 v27, v28
; %bb.165:
	s_or_b64 exec, exec, s[0:1]
.LBB1_166:
	s_or_b64 exec, exec, s[16:17]
.LBB1_167:
	s_andn2_saveexec_b64 s[0:1], s[14:15]
	s_or_b64 exec, exec, s[0:1]
                                        ; implicit-def: $vgpr29
                                        ; implicit-def: $vgpr4_vgpr5
.LBB1_168:
	s_andn2_saveexec_b64 s[0:1], s[8:9]
; %bb.169:
	s_movk_i32 s8, 0x7f
	v_or_b32_sdwa v28, v29, s8 dst_sel:DWORD dst_unused:UNUSED_PAD src0_sel:BYTE_3 src1_sel:DWORD
	v_cmp_eq_u64_e32 vcc, 0, v[4:5]
	v_cndmask_b32_e32 v27, v28, v27, vcc
; %bb.170:
	s_or_b64 exec, exec, s[0:1]
	v_mul_f32_e32 v4, v9, v25
	v_max_f32_e32 v4, 0xc3e00000, v4
	v_min_f32_e32 v29, 0x43e00000, v4
	v_mov_b32_e32 v5, 0
	s_movk_i32 s0, 0x80
	v_and_b32_sdwa v28, v29, s0 dst_sel:DWORD dst_unused:UNUSED_PAD src0_sel:BYTE_3 src1_sel:DWORD
	v_and_b32_e32 v30, 0x7f800000, v29
	v_mov_b32_e32 v31, v5
	s_mov_b64 s[0:1], 0x7f800000
	v_and_b32_e32 v4, 0x7fffff, v29
	v_or_b32_e32 v25, 0x7e, v28
	v_cmp_ne_u64_e32 vcc, s[0:1], v[30:31]
	s_and_saveexec_b64 s[0:1], vcc
	s_xor_b64 s[8:9], exec, s[0:1]
	s_cbranch_execz .LBB1_184
; %bb.171:
	v_and_b32_e32 v30, 0x7fffffff, v29
	v_mov_b32_e32 v31, v5
	s_mov_b64 s[0:1], 0x43e00001
	v_cmp_gt_u64_e32 vcc, s[0:1], v[30:31]
	s_and_saveexec_b64 s[0:1], vcc
	s_xor_b64 s[14:15], exec, s[0:1]
	s_cbranch_execz .LBB1_183
; %bb.172:
	v_cmp_ne_u32_e32 vcc, 0, v29
	v_mov_b32_e32 v25, 0
	s_and_saveexec_b64 s[16:17], vcc
	s_cbranch_execz .LBB1_182
; %bb.173:
	v_bfe_u32 v25, v29, 23, 8
	s_movk_i32 s0, 0x7a
	v_sub_u32_e32 v30, 0x79, v25
	v_cmp_gt_u32_e32 vcc, s0, v25
	v_add_u32_e32 v29, 0xffffff81, v25
	v_cndmask_b32_e32 v30, 0, v30, vcc
	v_mov_b32_e32 v32, 0xffffff82
	v_cmp_eq_u32_e32 vcc, 0, v25
	v_cndmask_b32_e32 v25, v29, v32, vcc
	v_mov_b32_e32 v29, 0x78
	v_cndmask_b32_e32 v29, v30, v29, vcc
	v_or_b32_e32 v31, 0x800000, v4
	v_add_u32_e32 v30, 20, v29
	v_cndmask_b32_e32 v4, v31, v4, vcc
	v_lshlrev_b64 v[30:31], v30, -1
	v_not_b32_e32 v30, v30
	v_and_b32_e32 v32, v4, v30
	v_add_u32_e32 v30, 19, v29
	v_lshrrev_b64 v[4:5], v29, v[4:5]
	v_not_b32_e32 v31, v31
	v_lshlrev_b64 v[34:35], v30, 1
	v_lshrrev_b32_e32 v30, 23, v4
	v_and_b32_e32 v33, 0, v31
	v_add3_u32 v30, v29, v25, v30
	v_bfe_u32 v29, v4, 20, 1
	v_add_u32_e32 v29, -1, v29
	v_cmp_eq_u64_e32 vcc, v[32:33], v[34:35]
	v_cndmask_b32_e32 v29, 0, v29, vcc
	v_add_u32_e32 v29, v29, v4
	v_and_b32_e32 v29, 0xfffff, v29
	v_add_co_u32_e32 v4, vcc, v29, v4
	v_add_u32_e32 v25, 6, v30
	v_addc_co_u32_e32 v5, vcc, 0, v5, vcc
	v_cmp_ne_u32_e32 vcc, 0, v25
                                        ; implicit-def: $vgpr29
	s_and_saveexec_b64 s[0:1], vcc
	s_xor_b64 s[0:1], exec, s[0:1]
; %bb.174:
	s_mov_b64 s[18:19], 0xffffff
	v_add_u32_e32 v29, 7, v30
	v_cmp_lt_u64_e32 vcc, s[18:19], v[4:5]
	v_cndmask_b32_e32 v29, v25, v29, vcc
	v_cndmask_b32_e64 v25, 0, 1, vcc
	v_lshrrev_b64 v[4:5], v25, v[4:5]
; %bb.175:
	s_andn2_saveexec_b64 s[0:1], s[0:1]
; %bb.176:
	v_bfe_u32 v29, v4, 23, 1
; %bb.177:
	s_or_b64 exec, exec, s[0:1]
	v_lshrrev_b64 v[4:5], 20, v[4:5]
	v_cmp_gt_i32_e32 vcc, 16, v29
	v_cndmask_b32_e32 v5, 0, v5, vcc
	v_cndmask_b32_e32 v4, 7, v4, vcc
	v_cmp_ne_u32_e32 vcc, 0, v29
	v_cmp_ne_u64_e64 s[0:1], 0, v[4:5]
	s_or_b64 s[0:1], vcc, s[0:1]
                                        ; implicit-def: $vgpr25
	s_and_saveexec_b64 s[18:19], s[0:1]
	s_xor_b64 s[0:1], exec, s[18:19]
; %bb.178:
	v_min_i32_e32 v5, 15, v29
	v_lshl_or_b32 v5, v5, 3, v28
	v_and_or_b32 v25, v4, 7, v5
                                        ; implicit-def: $vgpr28
; %bb.179:
	s_andn2_saveexec_b64 s[0:1], s[0:1]
; %bb.180:
	v_mov_b32_e32 v25, v28
; %bb.181:
	s_or_b64 exec, exec, s[0:1]
.LBB1_182:
	s_or_b64 exec, exec, s[16:17]
.LBB1_183:
	s_andn2_saveexec_b64 s[0:1], s[14:15]
	s_or_b64 exec, exec, s[0:1]
                                        ; implicit-def: $vgpr29
                                        ; implicit-def: $vgpr4_vgpr5
.LBB1_184:
	s_andn2_saveexec_b64 s[0:1], s[8:9]
; %bb.185:
	s_movk_i32 s8, 0x7f
	v_or_b32_sdwa v28, v29, s8 dst_sel:DWORD dst_unused:UNUSED_PAD src0_sel:BYTE_3 src1_sel:DWORD
	v_cmp_eq_u64_e32 vcc, 0, v[4:5]
	v_cndmask_b32_e32 v25, v28, v25, vcc
; %bb.186:
	s_or_b64 exec, exec, s[0:1]
	v_mul_f32_e32 v4, v9, v23
	v_max_f32_e32 v4, 0xc3e00000, v4
	v_min_f32_e32 v29, 0x43e00000, v4
	v_mov_b32_e32 v5, 0
	s_movk_i32 s0, 0x80
	v_and_b32_sdwa v28, v29, s0 dst_sel:DWORD dst_unused:UNUSED_PAD src0_sel:BYTE_3 src1_sel:DWORD
	v_and_b32_e32 v30, 0x7f800000, v29
	v_mov_b32_e32 v31, v5
	s_mov_b64 s[0:1], 0x7f800000
	v_and_b32_e32 v4, 0x7fffff, v29
	v_or_b32_e32 v23, 0x7e, v28
	v_cmp_ne_u64_e32 vcc, s[0:1], v[30:31]
	s_and_saveexec_b64 s[0:1], vcc
	s_xor_b64 s[8:9], exec, s[0:1]
	s_cbranch_execz .LBB1_200
; %bb.187:
	v_and_b32_e32 v30, 0x7fffffff, v29
	v_mov_b32_e32 v31, v5
	s_mov_b64 s[0:1], 0x43e00001
	v_cmp_gt_u64_e32 vcc, s[0:1], v[30:31]
	s_and_saveexec_b64 s[0:1], vcc
	s_xor_b64 s[14:15], exec, s[0:1]
	s_cbranch_execz .LBB1_199
; %bb.188:
	v_cmp_ne_u32_e32 vcc, 0, v29
	v_mov_b32_e32 v23, 0
	s_and_saveexec_b64 s[16:17], vcc
	s_cbranch_execz .LBB1_198
; %bb.189:
	v_bfe_u32 v23, v29, 23, 8
	s_movk_i32 s0, 0x7a
	v_sub_u32_e32 v30, 0x79, v23
	v_cmp_gt_u32_e32 vcc, s0, v23
	v_add_u32_e32 v29, 0xffffff81, v23
	v_cndmask_b32_e32 v30, 0, v30, vcc
	v_mov_b32_e32 v32, 0xffffff82
	v_cmp_eq_u32_e32 vcc, 0, v23
	v_cndmask_b32_e32 v23, v29, v32, vcc
	v_mov_b32_e32 v29, 0x78
	v_cndmask_b32_e32 v29, v30, v29, vcc
	v_or_b32_e32 v31, 0x800000, v4
	v_add_u32_e32 v30, 20, v29
	v_cndmask_b32_e32 v4, v31, v4, vcc
	v_lshlrev_b64 v[30:31], v30, -1
	v_not_b32_e32 v30, v30
	v_and_b32_e32 v32, v4, v30
	v_add_u32_e32 v30, 19, v29
	v_lshrrev_b64 v[4:5], v29, v[4:5]
	v_not_b32_e32 v31, v31
	v_lshlrev_b64 v[34:35], v30, 1
	v_lshrrev_b32_e32 v30, 23, v4
	v_and_b32_e32 v33, 0, v31
	v_add3_u32 v30, v29, v23, v30
	v_bfe_u32 v29, v4, 20, 1
	v_add_u32_e32 v29, -1, v29
	v_cmp_eq_u64_e32 vcc, v[32:33], v[34:35]
	v_cndmask_b32_e32 v29, 0, v29, vcc
	v_add_u32_e32 v29, v29, v4
	v_and_b32_e32 v29, 0xfffff, v29
	v_add_co_u32_e32 v4, vcc, v29, v4
	v_add_u32_e32 v23, 6, v30
	v_addc_co_u32_e32 v5, vcc, 0, v5, vcc
	v_cmp_ne_u32_e32 vcc, 0, v23
                                        ; implicit-def: $vgpr29
	s_and_saveexec_b64 s[0:1], vcc
	s_xor_b64 s[0:1], exec, s[0:1]
; %bb.190:
	s_mov_b64 s[18:19], 0xffffff
	v_add_u32_e32 v29, 7, v30
	v_cmp_lt_u64_e32 vcc, s[18:19], v[4:5]
	v_cndmask_b32_e32 v29, v23, v29, vcc
	v_cndmask_b32_e64 v23, 0, 1, vcc
	v_lshrrev_b64 v[4:5], v23, v[4:5]
; %bb.191:
	s_andn2_saveexec_b64 s[0:1], s[0:1]
; %bb.192:
	v_bfe_u32 v29, v4, 23, 1
; %bb.193:
	s_or_b64 exec, exec, s[0:1]
	v_lshrrev_b64 v[4:5], 20, v[4:5]
	v_cmp_gt_i32_e32 vcc, 16, v29
	v_cndmask_b32_e32 v5, 0, v5, vcc
	v_cndmask_b32_e32 v4, 7, v4, vcc
	v_cmp_ne_u32_e32 vcc, 0, v29
	v_cmp_ne_u64_e64 s[0:1], 0, v[4:5]
	s_or_b64 s[0:1], vcc, s[0:1]
                                        ; implicit-def: $vgpr23
	s_and_saveexec_b64 s[18:19], s[0:1]
	s_xor_b64 s[0:1], exec, s[18:19]
; %bb.194:
	v_min_i32_e32 v5, 15, v29
	v_lshl_or_b32 v5, v5, 3, v28
	v_and_or_b32 v23, v4, 7, v5
                                        ; implicit-def: $vgpr28
; %bb.195:
	s_andn2_saveexec_b64 s[0:1], s[0:1]
; %bb.196:
	v_mov_b32_e32 v23, v28
; %bb.197:
	s_or_b64 exec, exec, s[0:1]
.LBB1_198:
	s_or_b64 exec, exec, s[16:17]
.LBB1_199:
	s_andn2_saveexec_b64 s[0:1], s[14:15]
	s_or_b64 exec, exec, s[0:1]
                                        ; implicit-def: $vgpr29
                                        ; implicit-def: $vgpr4_vgpr5
.LBB1_200:
	s_andn2_saveexec_b64 s[0:1], s[8:9]
; %bb.201:
	s_movk_i32 s8, 0x7f
	v_or_b32_sdwa v28, v29, s8 dst_sel:DWORD dst_unused:UNUSED_PAD src0_sel:BYTE_3 src1_sel:DWORD
	v_cmp_eq_u64_e32 vcc, 0, v[4:5]
	v_cndmask_b32_e32 v23, v28, v23, vcc
; %bb.202:
	s_or_b64 exec, exec, s[0:1]
	v_mul_f32_e32 v4, v9, v22
	v_max_f32_e32 v4, 0xc3e00000, v4
	v_min_f32_e32 v29, 0x43e00000, v4
	v_mov_b32_e32 v5, 0
	s_movk_i32 s0, 0x80
	v_and_b32_sdwa v28, v29, s0 dst_sel:DWORD dst_unused:UNUSED_PAD src0_sel:BYTE_3 src1_sel:DWORD
	v_and_b32_e32 v30, 0x7f800000, v29
	v_mov_b32_e32 v31, v5
	s_mov_b64 s[0:1], 0x7f800000
	v_and_b32_e32 v4, 0x7fffff, v29
	v_or_b32_e32 v22, 0x7e, v28
	v_cmp_ne_u64_e32 vcc, s[0:1], v[30:31]
	s_and_saveexec_b64 s[0:1], vcc
	s_xor_b64 s[8:9], exec, s[0:1]
	s_cbranch_execz .LBB1_216
; %bb.203:
	v_and_b32_e32 v30, 0x7fffffff, v29
	v_mov_b32_e32 v31, v5
	s_mov_b64 s[0:1], 0x43e00001
	v_cmp_gt_u64_e32 vcc, s[0:1], v[30:31]
	s_and_saveexec_b64 s[0:1], vcc
	s_xor_b64 s[14:15], exec, s[0:1]
	s_cbranch_execz .LBB1_215
; %bb.204:
	v_cmp_ne_u32_e32 vcc, 0, v29
	v_mov_b32_e32 v22, 0
	s_and_saveexec_b64 s[16:17], vcc
	s_cbranch_execz .LBB1_214
; %bb.205:
	v_bfe_u32 v22, v29, 23, 8
	s_movk_i32 s0, 0x7a
	v_sub_u32_e32 v30, 0x79, v22
	v_cmp_gt_u32_e32 vcc, s0, v22
	v_add_u32_e32 v29, 0xffffff81, v22
	v_cndmask_b32_e32 v30, 0, v30, vcc
	v_mov_b32_e32 v32, 0xffffff82
	v_cmp_eq_u32_e32 vcc, 0, v22
	v_cndmask_b32_e32 v22, v29, v32, vcc
	v_mov_b32_e32 v29, 0x78
	v_cndmask_b32_e32 v29, v30, v29, vcc
	v_or_b32_e32 v31, 0x800000, v4
	v_add_u32_e32 v30, 20, v29
	v_cndmask_b32_e32 v4, v31, v4, vcc
	v_lshlrev_b64 v[30:31], v30, -1
	v_not_b32_e32 v30, v30
	v_and_b32_e32 v32, v4, v30
	v_add_u32_e32 v30, 19, v29
	v_lshrrev_b64 v[4:5], v29, v[4:5]
	v_not_b32_e32 v31, v31
	v_lshlrev_b64 v[34:35], v30, 1
	v_lshrrev_b32_e32 v30, 23, v4
	v_and_b32_e32 v33, 0, v31
	v_add3_u32 v30, v29, v22, v30
	v_bfe_u32 v29, v4, 20, 1
	v_add_u32_e32 v29, -1, v29
	v_cmp_eq_u64_e32 vcc, v[32:33], v[34:35]
	v_cndmask_b32_e32 v29, 0, v29, vcc
	v_add_u32_e32 v29, v29, v4
	v_and_b32_e32 v29, 0xfffff, v29
	v_add_co_u32_e32 v4, vcc, v29, v4
	v_add_u32_e32 v22, 6, v30
	v_addc_co_u32_e32 v5, vcc, 0, v5, vcc
	v_cmp_ne_u32_e32 vcc, 0, v22
                                        ; implicit-def: $vgpr29
	s_and_saveexec_b64 s[0:1], vcc
	s_xor_b64 s[0:1], exec, s[0:1]
; %bb.206:
	s_mov_b64 s[18:19], 0xffffff
	v_add_u32_e32 v29, 7, v30
	v_cmp_lt_u64_e32 vcc, s[18:19], v[4:5]
	v_cndmask_b32_e32 v29, v22, v29, vcc
	v_cndmask_b32_e64 v22, 0, 1, vcc
	v_lshrrev_b64 v[4:5], v22, v[4:5]
; %bb.207:
	s_andn2_saveexec_b64 s[0:1], s[0:1]
; %bb.208:
	v_bfe_u32 v29, v4, 23, 1
; %bb.209:
	s_or_b64 exec, exec, s[0:1]
	v_lshrrev_b64 v[4:5], 20, v[4:5]
	v_cmp_gt_i32_e32 vcc, 16, v29
	v_cndmask_b32_e32 v5, 0, v5, vcc
	v_cndmask_b32_e32 v4, 7, v4, vcc
	v_cmp_ne_u32_e32 vcc, 0, v29
	v_cmp_ne_u64_e64 s[0:1], 0, v[4:5]
	s_or_b64 s[0:1], vcc, s[0:1]
                                        ; implicit-def: $vgpr22
	s_and_saveexec_b64 s[18:19], s[0:1]
	s_xor_b64 s[0:1], exec, s[18:19]
; %bb.210:
	v_min_i32_e32 v5, 15, v29
	v_lshl_or_b32 v5, v5, 3, v28
	v_and_or_b32 v22, v4, 7, v5
                                        ; implicit-def: $vgpr28
; %bb.211:
	s_andn2_saveexec_b64 s[0:1], s[0:1]
; %bb.212:
	v_mov_b32_e32 v22, v28
; %bb.213:
	s_or_b64 exec, exec, s[0:1]
.LBB1_214:
	s_or_b64 exec, exec, s[16:17]
.LBB1_215:
	s_andn2_saveexec_b64 s[0:1], s[14:15]
	s_or_b64 exec, exec, s[0:1]
                                        ; implicit-def: $vgpr29
                                        ; implicit-def: $vgpr4_vgpr5
.LBB1_216:
	s_andn2_saveexec_b64 s[0:1], s[8:9]
; %bb.217:
	s_movk_i32 s8, 0x7f
	v_or_b32_sdwa v28, v29, s8 dst_sel:DWORD dst_unused:UNUSED_PAD src0_sel:BYTE_3 src1_sel:DWORD
	v_cmp_eq_u64_e32 vcc, 0, v[4:5]
	v_cndmask_b32_e32 v22, v28, v22, vcc
; %bb.218:
	s_or_b64 exec, exec, s[0:1]
	v_mul_f32_e32 v4, v9, v15
	v_max_f32_e32 v4, 0xc3e00000, v4
	v_min_f32_e32 v29, 0x43e00000, v4
	v_mov_b32_e32 v5, 0
	s_movk_i32 s0, 0x80
	v_and_b32_sdwa v28, v29, s0 dst_sel:DWORD dst_unused:UNUSED_PAD src0_sel:BYTE_3 src1_sel:DWORD
	v_and_b32_e32 v30, 0x7f800000, v29
	v_mov_b32_e32 v31, v5
	s_mov_b64 s[0:1], 0x7f800000
	v_and_b32_e32 v4, 0x7fffff, v29
	v_or_b32_e32 v15, 0x7e, v28
	v_cmp_ne_u64_e32 vcc, s[0:1], v[30:31]
	s_and_saveexec_b64 s[0:1], vcc
	s_xor_b64 s[8:9], exec, s[0:1]
	s_cbranch_execz .LBB1_232
; %bb.219:
	v_and_b32_e32 v30, 0x7fffffff, v29
	v_mov_b32_e32 v31, v5
	s_mov_b64 s[0:1], 0x43e00001
	v_cmp_gt_u64_e32 vcc, s[0:1], v[30:31]
	s_and_saveexec_b64 s[0:1], vcc
	s_xor_b64 s[14:15], exec, s[0:1]
	s_cbranch_execz .LBB1_231
; %bb.220:
	v_cmp_ne_u32_e32 vcc, 0, v29
	v_mov_b32_e32 v15, 0
	s_and_saveexec_b64 s[16:17], vcc
	s_cbranch_execz .LBB1_230
; %bb.221:
	v_bfe_u32 v15, v29, 23, 8
	s_movk_i32 s0, 0x7a
	v_sub_u32_e32 v30, 0x79, v15
	v_cmp_gt_u32_e32 vcc, s0, v15
	v_add_u32_e32 v29, 0xffffff81, v15
	v_cndmask_b32_e32 v30, 0, v30, vcc
	v_mov_b32_e32 v32, 0xffffff82
	v_cmp_eq_u32_e32 vcc, 0, v15
	v_cndmask_b32_e32 v15, v29, v32, vcc
	v_mov_b32_e32 v29, 0x78
	v_cndmask_b32_e32 v29, v30, v29, vcc
	v_or_b32_e32 v31, 0x800000, v4
	v_add_u32_e32 v30, 20, v29
	v_cndmask_b32_e32 v4, v31, v4, vcc
	v_lshlrev_b64 v[30:31], v30, -1
	v_not_b32_e32 v30, v30
	v_and_b32_e32 v32, v4, v30
	v_add_u32_e32 v30, 19, v29
	v_lshrrev_b64 v[4:5], v29, v[4:5]
	v_not_b32_e32 v31, v31
	v_lshlrev_b64 v[34:35], v30, 1
	v_lshrrev_b32_e32 v30, 23, v4
	v_and_b32_e32 v33, 0, v31
	v_add3_u32 v30, v29, v15, v30
	v_bfe_u32 v29, v4, 20, 1
	v_add_u32_e32 v29, -1, v29
	v_cmp_eq_u64_e32 vcc, v[32:33], v[34:35]
	v_cndmask_b32_e32 v29, 0, v29, vcc
	v_add_u32_e32 v29, v29, v4
	v_and_b32_e32 v29, 0xfffff, v29
	v_add_co_u32_e32 v4, vcc, v29, v4
	v_add_u32_e32 v15, 6, v30
	v_addc_co_u32_e32 v5, vcc, 0, v5, vcc
	v_cmp_ne_u32_e32 vcc, 0, v15
                                        ; implicit-def: $vgpr29
	s_and_saveexec_b64 s[0:1], vcc
	s_xor_b64 s[0:1], exec, s[0:1]
; %bb.222:
	s_mov_b64 s[18:19], 0xffffff
	v_add_u32_e32 v29, 7, v30
	v_cmp_lt_u64_e32 vcc, s[18:19], v[4:5]
	v_cndmask_b32_e32 v29, v15, v29, vcc
	v_cndmask_b32_e64 v15, 0, 1, vcc
	v_lshrrev_b64 v[4:5], v15, v[4:5]
; %bb.223:
	s_andn2_saveexec_b64 s[0:1], s[0:1]
; %bb.224:
	v_bfe_u32 v29, v4, 23, 1
; %bb.225:
	s_or_b64 exec, exec, s[0:1]
	v_lshrrev_b64 v[4:5], 20, v[4:5]
	v_cmp_gt_i32_e32 vcc, 16, v29
	v_cndmask_b32_e32 v5, 0, v5, vcc
	v_cndmask_b32_e32 v4, 7, v4, vcc
	v_cmp_ne_u32_e32 vcc, 0, v29
	v_cmp_ne_u64_e64 s[0:1], 0, v[4:5]
	s_or_b64 s[0:1], vcc, s[0:1]
                                        ; implicit-def: $vgpr15
	s_and_saveexec_b64 s[18:19], s[0:1]
	s_xor_b64 s[0:1], exec, s[18:19]
; %bb.226:
	v_min_i32_e32 v5, 15, v29
	v_lshl_or_b32 v5, v5, 3, v28
	v_and_or_b32 v15, v4, 7, v5
                                        ; implicit-def: $vgpr28
; %bb.227:
	s_andn2_saveexec_b64 s[0:1], s[0:1]
; %bb.228:
	v_mov_b32_e32 v15, v28
; %bb.229:
	s_or_b64 exec, exec, s[0:1]
.LBB1_230:
	s_or_b64 exec, exec, s[16:17]
.LBB1_231:
	s_andn2_saveexec_b64 s[0:1], s[14:15]
	s_or_b64 exec, exec, s[0:1]
                                        ; implicit-def: $vgpr29
                                        ; implicit-def: $vgpr4_vgpr5
.LBB1_232:
	s_andn2_saveexec_b64 s[0:1], s[8:9]
; %bb.233:
	s_movk_i32 s8, 0x7f
	v_or_b32_sdwa v28, v29, s8 dst_sel:DWORD dst_unused:UNUSED_PAD src0_sel:BYTE_3 src1_sel:DWORD
	v_cmp_eq_u64_e32 vcc, 0, v[4:5]
	v_cndmask_b32_e32 v15, v28, v15, vcc
; %bb.234:
	s_or_b64 exec, exec, s[0:1]
	v_mul_f32_e32 v4, v9, v13
	v_max_f32_e32 v4, 0xc3e00000, v4
	v_min_f32_e32 v29, 0x43e00000, v4
	v_mov_b32_e32 v5, 0
	s_movk_i32 s0, 0x80
	v_and_b32_sdwa v28, v29, s0 dst_sel:DWORD dst_unused:UNUSED_PAD src0_sel:BYTE_3 src1_sel:DWORD
	v_and_b32_e32 v30, 0x7f800000, v29
	v_mov_b32_e32 v31, v5
	s_mov_b64 s[0:1], 0x7f800000
	v_and_b32_e32 v4, 0x7fffff, v29
	v_or_b32_e32 v13, 0x7e, v28
	v_cmp_ne_u64_e32 vcc, s[0:1], v[30:31]
	s_and_saveexec_b64 s[0:1], vcc
	s_xor_b64 s[8:9], exec, s[0:1]
	s_cbranch_execz .LBB1_248
; %bb.235:
	v_and_b32_e32 v30, 0x7fffffff, v29
	v_mov_b32_e32 v31, v5
	s_mov_b64 s[0:1], 0x43e00001
	v_cmp_gt_u64_e32 vcc, s[0:1], v[30:31]
	s_and_saveexec_b64 s[0:1], vcc
	s_xor_b64 s[14:15], exec, s[0:1]
	s_cbranch_execz .LBB1_247
; %bb.236:
	v_cmp_ne_u32_e32 vcc, 0, v29
	v_mov_b32_e32 v13, 0
	s_and_saveexec_b64 s[16:17], vcc
	s_cbranch_execz .LBB1_246
; %bb.237:
	v_bfe_u32 v13, v29, 23, 8
	s_movk_i32 s0, 0x7a
	v_sub_u32_e32 v30, 0x79, v13
	v_cmp_gt_u32_e32 vcc, s0, v13
	v_add_u32_e32 v29, 0xffffff81, v13
	v_cndmask_b32_e32 v30, 0, v30, vcc
	v_mov_b32_e32 v32, 0xffffff82
	v_cmp_eq_u32_e32 vcc, 0, v13
	v_cndmask_b32_e32 v13, v29, v32, vcc
	v_mov_b32_e32 v29, 0x78
	v_cndmask_b32_e32 v29, v30, v29, vcc
	v_or_b32_e32 v31, 0x800000, v4
	v_add_u32_e32 v30, 20, v29
	v_cndmask_b32_e32 v4, v31, v4, vcc
	v_lshlrev_b64 v[30:31], v30, -1
	v_not_b32_e32 v30, v30
	v_and_b32_e32 v32, v4, v30
	v_add_u32_e32 v30, 19, v29
	v_lshrrev_b64 v[4:5], v29, v[4:5]
	v_not_b32_e32 v31, v31
	v_lshlrev_b64 v[34:35], v30, 1
	v_lshrrev_b32_e32 v30, 23, v4
	v_and_b32_e32 v33, 0, v31
	v_add3_u32 v30, v29, v13, v30
	v_bfe_u32 v29, v4, 20, 1
	v_add_u32_e32 v29, -1, v29
	v_cmp_eq_u64_e32 vcc, v[32:33], v[34:35]
	v_cndmask_b32_e32 v29, 0, v29, vcc
	v_add_u32_e32 v29, v29, v4
	v_and_b32_e32 v29, 0xfffff, v29
	v_add_co_u32_e32 v4, vcc, v29, v4
	v_add_u32_e32 v13, 6, v30
	v_addc_co_u32_e32 v5, vcc, 0, v5, vcc
	v_cmp_ne_u32_e32 vcc, 0, v13
                                        ; implicit-def: $vgpr29
	s_and_saveexec_b64 s[0:1], vcc
	s_xor_b64 s[0:1], exec, s[0:1]
; %bb.238:
	s_mov_b64 s[18:19], 0xffffff
	v_add_u32_e32 v29, 7, v30
	v_cmp_lt_u64_e32 vcc, s[18:19], v[4:5]
	v_cndmask_b32_e32 v29, v13, v29, vcc
	v_cndmask_b32_e64 v13, 0, 1, vcc
	v_lshrrev_b64 v[4:5], v13, v[4:5]
; %bb.239:
	s_andn2_saveexec_b64 s[0:1], s[0:1]
; %bb.240:
	v_bfe_u32 v29, v4, 23, 1
; %bb.241:
	s_or_b64 exec, exec, s[0:1]
	v_lshrrev_b64 v[4:5], 20, v[4:5]
	v_cmp_gt_i32_e32 vcc, 16, v29
	v_cndmask_b32_e32 v5, 0, v5, vcc
	v_cndmask_b32_e32 v4, 7, v4, vcc
	v_cmp_ne_u32_e32 vcc, 0, v29
	v_cmp_ne_u64_e64 s[0:1], 0, v[4:5]
	s_or_b64 s[0:1], vcc, s[0:1]
                                        ; implicit-def: $vgpr13
	s_and_saveexec_b64 s[18:19], s[0:1]
	s_xor_b64 s[0:1], exec, s[18:19]
; %bb.242:
	v_min_i32_e32 v5, 15, v29
	v_lshl_or_b32 v5, v5, 3, v28
	v_and_or_b32 v13, v4, 7, v5
                                        ; implicit-def: $vgpr28
; %bb.243:
	s_andn2_saveexec_b64 s[0:1], s[0:1]
; %bb.244:
	v_mov_b32_e32 v13, v28
; %bb.245:
	s_or_b64 exec, exec, s[0:1]
.LBB1_246:
	s_or_b64 exec, exec, s[16:17]
.LBB1_247:
	s_andn2_saveexec_b64 s[0:1], s[14:15]
	s_or_b64 exec, exec, s[0:1]
                                        ; implicit-def: $vgpr29
                                        ; implicit-def: $vgpr4_vgpr5
.LBB1_248:
	s_andn2_saveexec_b64 s[0:1], s[8:9]
; %bb.249:
	s_movk_i32 s8, 0x7f
	v_or_b32_sdwa v28, v29, s8 dst_sel:DWORD dst_unused:UNUSED_PAD src0_sel:BYTE_3 src1_sel:DWORD
	v_cmp_eq_u64_e32 vcc, 0, v[4:5]
	v_cndmask_b32_e32 v13, v28, v13, vcc
; %bb.250:
	s_or_b64 exec, exec, s[0:1]
	v_mul_f32_e32 v4, v9, v11
	v_max_f32_e32 v4, 0xc3e00000, v4
	v_min_f32_e32 v29, 0x43e00000, v4
	v_mov_b32_e32 v5, 0
	s_movk_i32 s0, 0x80
	v_and_b32_sdwa v28, v29, s0 dst_sel:DWORD dst_unused:UNUSED_PAD src0_sel:BYTE_3 src1_sel:DWORD
	v_and_b32_e32 v30, 0x7f800000, v29
	v_mov_b32_e32 v31, v5
	s_mov_b64 s[0:1], 0x7f800000
	v_and_b32_e32 v4, 0x7fffff, v29
	v_or_b32_e32 v11, 0x7e, v28
	v_cmp_ne_u64_e32 vcc, s[0:1], v[30:31]
	s_and_saveexec_b64 s[0:1], vcc
	s_xor_b64 s[8:9], exec, s[0:1]
	s_cbranch_execz .LBB1_264
; %bb.251:
	v_and_b32_e32 v30, 0x7fffffff, v29
	v_mov_b32_e32 v31, v5
	s_mov_b64 s[0:1], 0x43e00001
	v_cmp_gt_u64_e32 vcc, s[0:1], v[30:31]
	s_and_saveexec_b64 s[0:1], vcc
	s_xor_b64 s[14:15], exec, s[0:1]
	s_cbranch_execz .LBB1_263
; %bb.252:
	v_cmp_ne_u32_e32 vcc, 0, v29
	v_mov_b32_e32 v11, 0
	s_and_saveexec_b64 s[16:17], vcc
	s_cbranch_execz .LBB1_262
; %bb.253:
	v_bfe_u32 v11, v29, 23, 8
	s_movk_i32 s0, 0x7a
	v_sub_u32_e32 v30, 0x79, v11
	v_cmp_gt_u32_e32 vcc, s0, v11
	v_add_u32_e32 v29, 0xffffff81, v11
	v_cndmask_b32_e32 v30, 0, v30, vcc
	v_mov_b32_e32 v32, 0xffffff82
	v_cmp_eq_u32_e32 vcc, 0, v11
	v_cndmask_b32_e32 v11, v29, v32, vcc
	v_mov_b32_e32 v29, 0x78
	v_cndmask_b32_e32 v29, v30, v29, vcc
	v_or_b32_e32 v31, 0x800000, v4
	v_add_u32_e32 v30, 20, v29
	v_cndmask_b32_e32 v4, v31, v4, vcc
	v_lshlrev_b64 v[30:31], v30, -1
	v_not_b32_e32 v30, v30
	v_and_b32_e32 v32, v4, v30
	v_add_u32_e32 v30, 19, v29
	v_lshrrev_b64 v[4:5], v29, v[4:5]
	v_not_b32_e32 v31, v31
	v_lshlrev_b64 v[34:35], v30, 1
	v_lshrrev_b32_e32 v30, 23, v4
	v_and_b32_e32 v33, 0, v31
	v_add3_u32 v30, v29, v11, v30
	v_bfe_u32 v29, v4, 20, 1
	v_add_u32_e32 v29, -1, v29
	v_cmp_eq_u64_e32 vcc, v[32:33], v[34:35]
	v_cndmask_b32_e32 v29, 0, v29, vcc
	v_add_u32_e32 v29, v29, v4
	v_and_b32_e32 v29, 0xfffff, v29
	v_add_co_u32_e32 v4, vcc, v29, v4
	v_add_u32_e32 v11, 6, v30
	v_addc_co_u32_e32 v5, vcc, 0, v5, vcc
	v_cmp_ne_u32_e32 vcc, 0, v11
                                        ; implicit-def: $vgpr29
	s_and_saveexec_b64 s[0:1], vcc
	s_xor_b64 s[0:1], exec, s[0:1]
; %bb.254:
	s_mov_b64 s[18:19], 0xffffff
	v_add_u32_e32 v29, 7, v30
	v_cmp_lt_u64_e32 vcc, s[18:19], v[4:5]
	v_cndmask_b32_e32 v29, v11, v29, vcc
	v_cndmask_b32_e64 v11, 0, 1, vcc
	v_lshrrev_b64 v[4:5], v11, v[4:5]
; %bb.255:
	s_andn2_saveexec_b64 s[0:1], s[0:1]
; %bb.256:
	v_bfe_u32 v29, v4, 23, 1
; %bb.257:
	s_or_b64 exec, exec, s[0:1]
	v_lshrrev_b64 v[4:5], 20, v[4:5]
	v_cmp_gt_i32_e32 vcc, 16, v29
	v_cndmask_b32_e32 v5, 0, v5, vcc
	v_cndmask_b32_e32 v4, 7, v4, vcc
	v_cmp_ne_u32_e32 vcc, 0, v29
	v_cmp_ne_u64_e64 s[0:1], 0, v[4:5]
	s_or_b64 s[0:1], vcc, s[0:1]
                                        ; implicit-def: $vgpr11
	s_and_saveexec_b64 s[18:19], s[0:1]
	s_xor_b64 s[0:1], exec, s[18:19]
; %bb.258:
	v_min_i32_e32 v5, 15, v29
	v_lshl_or_b32 v5, v5, 3, v28
	v_and_or_b32 v11, v4, 7, v5
                                        ; implicit-def: $vgpr28
; %bb.259:
	s_andn2_saveexec_b64 s[0:1], s[0:1]
; %bb.260:
	v_mov_b32_e32 v11, v28
; %bb.261:
	s_or_b64 exec, exec, s[0:1]
.LBB1_262:
	s_or_b64 exec, exec, s[16:17]
.LBB1_263:
	s_andn2_saveexec_b64 s[0:1], s[14:15]
	s_or_b64 exec, exec, s[0:1]
                                        ; implicit-def: $vgpr29
                                        ; implicit-def: $vgpr4_vgpr5
.LBB1_264:
	s_andn2_saveexec_b64 s[0:1], s[8:9]
; %bb.265:
	s_movk_i32 s8, 0x7f
	v_or_b32_sdwa v28, v29, s8 dst_sel:DWORD dst_unused:UNUSED_PAD src0_sel:BYTE_3 src1_sel:DWORD
	v_cmp_eq_u64_e32 vcc, 0, v[4:5]
	v_cndmask_b32_e32 v11, v28, v11, vcc
; %bb.266:
	s_or_b64 exec, exec, s[0:1]
	v_mul_f32_e32 v4, v9, v8
	v_max_f32_e32 v4, 0xc3e00000, v4
	v_min_f32_e32 v28, 0x43e00000, v4
	v_mov_b32_e32 v5, 0
	s_movk_i32 s0, 0x80
	v_and_b32_sdwa v8, v28, s0 dst_sel:DWORD dst_unused:UNUSED_PAD src0_sel:BYTE_3 src1_sel:DWORD
	v_and_b32_e32 v30, 0x7f800000, v28
	v_mov_b32_e32 v31, v5
	s_mov_b64 s[0:1], 0x7f800000
	v_and_b32_e32 v4, 0x7fffff, v28
	v_or_b32_e32 v9, 0x7e, v8
	v_cmp_ne_u64_e32 vcc, s[0:1], v[30:31]
	s_and_saveexec_b64 s[0:1], vcc
	s_xor_b64 s[8:9], exec, s[0:1]
	s_cbranch_execz .LBB1_280
; %bb.267:
	v_and_b32_e32 v30, 0x7fffffff, v28
	v_mov_b32_e32 v31, v5
	s_mov_b64 s[0:1], 0x43e00001
	v_cmp_gt_u64_e32 vcc, s[0:1], v[30:31]
	s_and_saveexec_b64 s[0:1], vcc
	s_xor_b64 s[14:15], exec, s[0:1]
	s_cbranch_execz .LBB1_279
; %bb.268:
	v_cmp_ne_u32_e32 vcc, 0, v28
	v_mov_b32_e32 v9, 0
	s_and_saveexec_b64 s[16:17], vcc
	s_cbranch_execz .LBB1_278
; %bb.269:
	v_bfe_u32 v9, v28, 23, 8
	s_movk_i32 s0, 0x7a
	v_sub_u32_e32 v29, 0x79, v9
	v_cmp_gt_u32_e32 vcc, s0, v9
	v_add_u32_e32 v28, 0xffffff81, v9
	v_cndmask_b32_e32 v29, 0, v29, vcc
	v_mov_b32_e32 v31, 0xffffff82
	v_cmp_eq_u32_e32 vcc, 0, v9
	v_cndmask_b32_e32 v9, v28, v31, vcc
	v_mov_b32_e32 v28, 0x78
	v_cndmask_b32_e32 v34, v29, v28, vcc
	v_add_u32_e32 v28, 20, v34
	v_or_b32_e32 v30, 0x800000, v4
	v_lshlrev_b64 v[28:29], v28, -1
	v_cndmask_b32_e32 v4, v30, v4, vcc
	v_not_b32_e32 v28, v28
	v_and_b32_e32 v30, v4, v28
	v_add_u32_e32 v28, 19, v34
	v_lshrrev_b64 v[4:5], v34, v[4:5]
	v_not_b32_e32 v29, v29
	v_lshlrev_b64 v[32:33], v28, 1
	v_lshrrev_b32_e32 v28, 23, v4
	v_and_b32_e32 v31, 0, v29
	v_add3_u32 v29, v34, v9, v28
	v_bfe_u32 v28, v4, 20, 1
	v_add_u32_e32 v28, -1, v28
	v_cmp_eq_u64_e32 vcc, v[30:31], v[32:33]
	v_cndmask_b32_e32 v28, 0, v28, vcc
	v_add_u32_e32 v28, v28, v4
	v_and_b32_e32 v28, 0xfffff, v28
	v_add_co_u32_e32 v4, vcc, v28, v4
	v_add_u32_e32 v9, 6, v29
	v_addc_co_u32_e32 v5, vcc, 0, v5, vcc
	v_cmp_ne_u32_e32 vcc, 0, v9
                                        ; implicit-def: $vgpr28
	s_and_saveexec_b64 s[0:1], vcc
	s_xor_b64 s[0:1], exec, s[0:1]
; %bb.270:
	s_mov_b64 s[18:19], 0xffffff
	v_add_u32_e32 v28, 7, v29
	v_cmp_lt_u64_e32 vcc, s[18:19], v[4:5]
	v_cndmask_b32_e32 v28, v9, v28, vcc
	v_cndmask_b32_e64 v9, 0, 1, vcc
	v_lshrrev_b64 v[4:5], v9, v[4:5]
; %bb.271:
	s_andn2_saveexec_b64 s[0:1], s[0:1]
; %bb.272:
	v_bfe_u32 v28, v4, 23, 1
; %bb.273:
	s_or_b64 exec, exec, s[0:1]
	v_lshrrev_b64 v[4:5], 20, v[4:5]
	v_cmp_gt_i32_e32 vcc, 16, v28
	v_cndmask_b32_e32 v5, 0, v5, vcc
	v_cndmask_b32_e32 v4, 7, v4, vcc
	v_cmp_ne_u32_e32 vcc, 0, v28
	v_cmp_ne_u64_e64 s[0:1], 0, v[4:5]
	s_or_b64 s[0:1], vcc, s[0:1]
                                        ; implicit-def: $vgpr9
	s_and_saveexec_b64 s[18:19], s[0:1]
	s_xor_b64 s[0:1], exec, s[18:19]
; %bb.274:
	v_min_i32_e32 v5, 15, v28
	v_lshl_or_b32 v5, v5, 3, v8
	v_and_or_b32 v9, v4, 7, v5
                                        ; implicit-def: $vgpr8
; %bb.275:
	s_andn2_saveexec_b64 s[0:1], s[0:1]
; %bb.276:
	v_mov_b32_e32 v9, v8
; %bb.277:
	s_or_b64 exec, exec, s[0:1]
.LBB1_278:
	s_or_b64 exec, exec, s[16:17]
.LBB1_279:
	s_andn2_saveexec_b64 s[0:1], s[14:15]
	s_or_b64 exec, exec, s[0:1]
                                        ; implicit-def: $vgpr28
                                        ; implicit-def: $vgpr4_vgpr5
.LBB1_280:
	s_andn2_saveexec_b64 s[0:1], s[8:9]
; %bb.281:
	s_movk_i32 s8, 0x7f
	v_or_b32_sdwa v8, v28, s8 dst_sel:DWORD dst_unused:UNUSED_PAD src0_sel:BYTE_3 src1_sel:DWORD
	v_cmp_eq_u64_e32 vcc, 0, v[4:5]
	v_cndmask_b32_e32 v9, v8, v9, vcc
; %bb.282:
	s_or_b64 exec, exec, s[0:1]
	v_mov_b32_e32 v8, 0x240
	v_lshlrev_b64 v[4:5], 3, v[18:19]
	v_mad_i64_i32 v[18:19], s[0:1], s20, v8, v[20:21]
	v_add_co_u32_e32 v4, vcc, v18, v4
	v_addc_co_u32_e32 v5, vcc, v19, v5, vcc
	v_add_co_u32_e32 v2, vcc, v2, v1
	v_lshlrev_b16_e32 v1, 8, v13
	v_lshlrev_b16_e32 v8, 8, v9
	v_or_b32_sdwa v1, v15, v1 dst_sel:DWORD dst_unused:UNUSED_PAD src0_sel:BYTE_0 src1_sel:DWORD
	v_or_b32_sdwa v8, v11, v8 dst_sel:WORD_1 dst_unused:UNUSED_PAD src0_sel:BYTE_0 src1_sel:DWORD
	v_or_b32_sdwa v19, v1, v8 dst_sel:DWORD dst_unused:UNUSED_PAD src0_sel:WORD_0 src1_sel:DWORD
	v_lshlrev_b16_e32 v1, 8, v25
	v_lshlrev_b16_e32 v8, 8, v22
	v_or_b32_sdwa v1, v27, v1 dst_sel:DWORD dst_unused:UNUSED_PAD src0_sel:BYTE_0 src1_sel:DWORD
	v_or_b32_sdwa v8, v23, v8 dst_sel:WORD_1 dst_unused:UNUSED_PAD src0_sel:BYTE_0 src1_sel:DWORD
	v_or_b32_sdwa v18, v1, v8 dst_sel:DWORD dst_unused:UNUSED_PAD src0_sel:WORD_0 src1_sel:DWORD
	;; [unrolled: 5-line block ×3, first 2 shown]
	v_lshlrev_b16_e32 v1, 8, v10
	v_or_b32_sdwa v1, v7, v1 dst_sel:DWORD dst_unused:UNUSED_PAD src0_sel:BYTE_0 src1_sel:DWORD
	v_lshlrev_b16_e32 v7, 8, v14
	v_addc_co_u32_e32 v3, vcc, 0, v3, vcc
	v_or_b32_sdwa v7, v12, v7 dst_sel:WORD_1 dst_unused:UNUSED_PAD src0_sel:BYTE_0 src1_sel:DWORD
	v_and_b32_e32 v0, 3, v0
	v_or_b32_sdwa v16, v1, v7 dst_sel:DWORD dst_unused:UNUSED_PAD src0_sel:WORD_0 src1_sel:DWORD
	v_cmp_eq_u32_e32 vcc, 0, v0
	global_store_dwordx4 v[2:3], v[16:19], off
	s_and_saveexec_b64 s[0:1], vcc
	s_cbranch_execz .LBB1_284
; %bb.283:
	v_add_f32_e32 v1, 0x42fe0000, v6
	v_min_f32_e32 v1, 0x437f0000, v1
	v_max_f32_e32 v1, 0, v1
	v_cvt_i32_f32_e32 v2, v1
	v_lshrrev_b32_e32 v0, 2, v38
	v_add_co_u32_e32 v0, vcc, v4, v0
	v_addc_co_u32_e32 v1, vcc, 0, v5, vcc
	global_store_byte v[0:1], v2, off
.LBB1_284:
	s_or_b64 exec, exec, s[0:1]
	v_cmp_eq_u32_e32 vcc, 0, v38
	s_and_saveexec_b64 s[0:1], vcc
	s_cbranch_execz .LBB1_286
; %bb.285:
	v_mov_b32_e32 v0, 0
	global_store_byte v[4:5], v0, off offset:7
.LBB1_286:
	s_or_b64 exec, exec, s[0:1]
                                        ; implicit-def: $vgpr1
                                        ; implicit-def: $vgpr33
                                        ; implicit-def: $vgpr34
                                        ; implicit-def: $vgpr4
                                        ; implicit-def: $vgpr5
                                        ; implicit-def: $vgpr6
                                        ; implicit-def: $vgpr7
                                        ; implicit-def: $vgpr36
                                        ; implicit-def: $vgpr37
                                        ; implicit-def: $vgpr9
                                        ; implicit-def: $vgpr10
                                        ; implicit-def: $vgpr12
                                        ; implicit-def: $vgpr39
                                        ; implicit-def: $vgpr14
                                        ; implicit-def: $vgpr40
                                        ; implicit-def: $vgpr16
                                        ; implicit-def: $vgpr17
                                        ; implicit-def: $vgpr2_vgpr3
.LBB1_287:
	s_andn2_saveexec_b64 s[0:1], s[2:3]
                                        ; implicit-def: $vgpr35
	s_cbranch_execz .LBB1_289
; %bb.288:
	v_lshlrev_b32_e32 v0, 1, v1
	v_add_co_u32_e32 v18, vcc, v2, v0
	s_mov_b32 s0, 0x5040100
	v_addc_co_u32_e32 v19, vcc, 0, v3, vcc
	v_perm_b32 v3, v37, v36, s0
	v_perm_b32 v2, v7, v6, s0
	;; [unrolled: 1-line block ×4, first 2 shown]
	global_store_dwordx4 v[18:19], v[0:3], off offset:-448
	s_nop 0
	v_perm_b32 v3, v17, v16, s0
	v_perm_b32 v2, v40, v14, s0
	;; [unrolled: 1-line block ×4, first 2 shown]
	global_store_dwordx4 v[18:19], v[0:3], off offset:-432
.LBB1_289:
	s_or_b64 exec, exec, s[10:11]
                                        ; implicit-def: $vgpr2_vgpr3_vgpr4_vgpr5_vgpr6_vgpr7_vgpr8_vgpr9_vgpr10_vgpr11_vgpr12_vgpr13_vgpr14_vgpr15_vgpr16_vgpr17
                                        ; implicit-def: $vgpr34
                                        ; implicit-def: $vgpr36
                                        ; implicit-def: $vgpr1
	s_andn2_saveexec_b64 s[0:1], s[12:13]
	s_cbranch_execnz .LBB1_17
	s_branch .LBB1_18
	.section	.rodata,"a",@progbits
	.p2align	6, 0x0
	.amdhsa_kernel _ZN4vllm21deepseek_v4_fused_ops47fusedDeepseekV4QNormRopeKVRopeQuantInsertKernelIN3c104HalfELi16EEEvPKT_PS4_S6_PhPKlSA_PKffiiiii
		.amdhsa_group_segment_fixed_size 0
		.amdhsa_private_segment_fixed_size 0
		.amdhsa_kernarg_size 336
		.amdhsa_user_sgpr_count 6
		.amdhsa_user_sgpr_private_segment_buffer 1
		.amdhsa_user_sgpr_dispatch_ptr 0
		.amdhsa_user_sgpr_queue_ptr 0
		.amdhsa_user_sgpr_kernarg_segment_ptr 1
		.amdhsa_user_sgpr_dispatch_id 0
		.amdhsa_user_sgpr_flat_scratch_init 0
		.amdhsa_user_sgpr_kernarg_preload_length 0
		.amdhsa_user_sgpr_kernarg_preload_offset 0
		.amdhsa_user_sgpr_private_segment_size 0
		.amdhsa_uses_dynamic_stack 0
		.amdhsa_system_sgpr_private_segment_wavefront_offset 0
		.amdhsa_system_sgpr_workgroup_id_x 1
		.amdhsa_system_sgpr_workgroup_id_y 0
		.amdhsa_system_sgpr_workgroup_id_z 0
		.amdhsa_system_sgpr_workgroup_info 0
		.amdhsa_system_vgpr_workitem_id 0
		.amdhsa_next_free_vgpr 48
		.amdhsa_next_free_sgpr 28
		.amdhsa_accum_offset 48
		.amdhsa_reserve_vcc 1
		.amdhsa_reserve_flat_scratch 0
		.amdhsa_float_round_mode_32 0
		.amdhsa_float_round_mode_16_64 0
		.amdhsa_float_denorm_mode_32 3
		.amdhsa_float_denorm_mode_16_64 3
		.amdhsa_dx10_clamp 1
		.amdhsa_ieee_mode 1
		.amdhsa_fp16_overflow 0
		.amdhsa_tg_split 0
		.amdhsa_exception_fp_ieee_invalid_op 0
		.amdhsa_exception_fp_denorm_src 0
		.amdhsa_exception_fp_ieee_div_zero 0
		.amdhsa_exception_fp_ieee_overflow 0
		.amdhsa_exception_fp_ieee_underflow 0
		.amdhsa_exception_fp_ieee_inexact 0
		.amdhsa_exception_int_div_zero 0
	.end_amdhsa_kernel
	.section	.text._ZN4vllm21deepseek_v4_fused_ops47fusedDeepseekV4QNormRopeKVRopeQuantInsertKernelIN3c104HalfELi16EEEvPKT_PS4_S6_PhPKlSA_PKffiiiii,"axG",@progbits,_ZN4vllm21deepseek_v4_fused_ops47fusedDeepseekV4QNormRopeKVRopeQuantInsertKernelIN3c104HalfELi16EEEvPKT_PS4_S6_PhPKlSA_PKffiiiii,comdat
.Lfunc_end1:
	.size	_ZN4vllm21deepseek_v4_fused_ops47fusedDeepseekV4QNormRopeKVRopeQuantInsertKernelIN3c104HalfELi16EEEvPKT_PS4_S6_PhPKlSA_PKffiiiii, .Lfunc_end1-_ZN4vllm21deepseek_v4_fused_ops47fusedDeepseekV4QNormRopeKVRopeQuantInsertKernelIN3c104HalfELi16EEEvPKT_PS4_S6_PhPKlSA_PKffiiiii
                                        ; -- End function
	.section	.AMDGPU.csdata,"",@progbits
; Kernel info:
; codeLenInByte = 11612
; NumSgprs: 32
; NumVgprs: 48
; NumAgprs: 0
; TotalNumVgprs: 48
; ScratchSize: 0
; MemoryBound: 1
; FloatMode: 240
; IeeeMode: 1
; LDSByteSize: 0 bytes/workgroup (compile time only)
; SGPRBlocks: 3
; VGPRBlocks: 5
; NumSGPRsForWavesPerEU: 32
; NumVGPRsForWavesPerEU: 48
; AccumOffset: 48
; Occupancy: 8
; WaveLimiterHint : 1
; COMPUTE_PGM_RSRC2:SCRATCH_EN: 0
; COMPUTE_PGM_RSRC2:USER_SGPR: 6
; COMPUTE_PGM_RSRC2:TRAP_HANDLER: 0
; COMPUTE_PGM_RSRC2:TGID_X_EN: 1
; COMPUTE_PGM_RSRC2:TGID_Y_EN: 0
; COMPUTE_PGM_RSRC2:TGID_Z_EN: 0
; COMPUTE_PGM_RSRC2:TIDIG_COMP_CNT: 0
; COMPUTE_PGM_RSRC3_GFX90A:ACCUM_OFFSET: 11
; COMPUTE_PGM_RSRC3_GFX90A:TG_SPLIT: 0
	.section	.text._ZN4vllm21deepseek_v4_fused_ops47fusedDeepseekV4QNormRopeKVRopeQuantInsertKernelIN3c104HalfELi32EEEvPKT_PS4_S6_PhPKlSA_PKffiiiii,"axG",@progbits,_ZN4vllm21deepseek_v4_fused_ops47fusedDeepseekV4QNormRopeKVRopeQuantInsertKernelIN3c104HalfELi32EEEvPKT_PS4_S6_PhPKlSA_PKffiiiii,comdat
	.protected	_ZN4vllm21deepseek_v4_fused_ops47fusedDeepseekV4QNormRopeKVRopeQuantInsertKernelIN3c104HalfELi32EEEvPKT_PS4_S6_PhPKlSA_PKffiiiii ; -- Begin function _ZN4vllm21deepseek_v4_fused_ops47fusedDeepseekV4QNormRopeKVRopeQuantInsertKernelIN3c104HalfELi32EEEvPKT_PS4_S6_PhPKlSA_PKffiiiii
	.globl	_ZN4vllm21deepseek_v4_fused_ops47fusedDeepseekV4QNormRopeKVRopeQuantInsertKernelIN3c104HalfELi32EEEvPKT_PS4_S6_PhPKlSA_PKffiiiii
	.p2align	8
	.type	_ZN4vllm21deepseek_v4_fused_ops47fusedDeepseekV4QNormRopeKVRopeQuantInsertKernelIN3c104HalfELi32EEEvPKT_PS4_S6_PhPKlSA_PKffiiiii,@function
_ZN4vllm21deepseek_v4_fused_ops47fusedDeepseekV4QNormRopeKVRopeQuantInsertKernelIN3c104HalfELi32EEEvPKT_PS4_S6_PhPKlSA_PKffiiiii: ; @_ZN4vllm21deepseek_v4_fused_ops47fusedDeepseekV4QNormRopeKVRopeQuantInsertKernelIN3c104HalfELi32EEEvPKT_PS4_S6_PhPKlSA_PKffiiiii
; %bb.0:
	s_load_dword s0, s[4:5], 0x5c
	s_load_dwordx4 s[16:19], s[4:5], 0x38
	v_lshrrev_b32_e32 v1, 5, v0
	s_waitcnt lgkmcnt(0)
	s_bfe_u32 s0, s0, 0xb0005
	s_mul_i32 s6, s6, s0
	v_add_u32_e32 v1, s6, v1
	s_mov_b32 s0, 0x3e0f83e1
	v_mul_hi_i32 v2, v1, s0
	v_lshrrev_b32_e32 v3, 31, v2
	v_ashrrev_i32_e32 v2, 3, v2
	v_add_u32_e32 v34, v2, v3
	v_cmp_gt_i32_e32 vcc, s17, v34
	s_and_saveexec_b64 s[0:1], vcc
	s_cbranch_execz .LBB2_10
; %bb.1:
	s_load_dwordx2 s[20:21], s[4:5], 0x48
	v_lshl_add_u32 v2, v34, 5, v34
	v_sub_u32_e32 v36, v1, v2
	v_cmp_ne_u32_e64 s[0:1], 32, v36
	v_cmp_gt_i32_e64 s[2:3], s18, v34
	v_cmp_eq_u32_e32 vcc, 32, v36
	s_or_b64 s[2:3], s[0:1], s[2:3]
	s_and_b64 exec, exec, s[2:3]
	s_cbranch_execz .LBB2_10
; %bb.2:
	s_load_dwordx2 s[6:7], s[4:5], 0x8
	s_load_dwordx8 s[8:15], s[4:5], 0x18
	v_cmp_gt_i32_e64 s[2:3], s19, v36
	s_xor_b64 s[22:23], s[0:1], -1
	v_and_b32_e32 v38, 31, v0
	s_or_b64 s[22:23], s[22:23], s[2:3]
	v_lshlrev_b32_e32 v1, 4, v38
	v_ashrrev_i32_e32 v35, 31, v34
                                        ; implicit-def: $vgpr11
                                        ; implicit-def: $vgpr19
	s_and_saveexec_b64 s[24:25], s[22:23]
	s_cbranch_execz .LBB2_11
; %bb.3:
                                        ; implicit-def: $vgpr2_vgpr3
	s_and_saveexec_b64 s[2:3], vcc
	s_xor_b64 s[26:27], exec, s[2:3]
	s_cbranch_execz .LBB2_5
; %bb.4:
	s_load_dwordx2 s[2:3], s[4:5], 0x10
	v_lshlrev_b64 v[2:3], 10, v[34:35]
	s_waitcnt lgkmcnt(0)
	v_mov_b32_e32 v4, s3
	v_add_co_u32_e64 v2, s[2:3], s2, v2
	v_addc_co_u32_e64 v3, s[2:3], v4, v3, s[2:3]
	v_lshlrev_b32_e32 v4, 1, v1
	v_add_co_u32_e64 v2, s[2:3], v2, v4
	v_addc_co_u32_e64 v3, s[2:3], 0, v3, s[2:3]
.LBB2_5:
	s_andn2_saveexec_b64 s[26:27], s[26:27]
	s_cbranch_execz .LBB2_7
; %bb.6:
	s_load_dwordx2 s[2:3], s[4:5], 0x0
	v_ashrrev_i32_e32 v37, 31, v36
	v_mad_i64_i32 v[2:3], s[4:5], v34, s19, v[36:37]
	v_lshlrev_b64 v[2:3], 10, v[2:3]
	v_lshl_or_b32 v2, v1, 1, v2
	s_waitcnt lgkmcnt(0)
	v_mov_b32_e32 v4, s3
	v_add_co_u32_e64 v2, s[2:3], s2, v2
	v_addc_co_u32_e64 v3, s[2:3], v4, v3, s[2:3]
.LBB2_7:
	s_or_b64 exec, exec, s[26:27]
	global_load_dwordx4 v[16:19], v[2:3], off offset:16
	global_load_dwordx4 v[8:11], v[2:3], off
	s_or_b64 exec, exec, s[24:25]
	s_and_saveexec_b64 s[2:3], s[22:23]
	s_xor_b64 s[4:5], exec, s[2:3]
	s_cbranch_execnz .LBB2_12
.LBB2_8:
	s_andn2_saveexec_b64 s[0:1], s[4:5]
	s_cbranch_execz .LBB2_10
.LBB2_9:
	v_lshlrev_b64 v[2:3], 15, v[34:35]
	v_ashrrev_i32_e32 v37, 31, v36
	s_waitcnt lgkmcnt(0)
	v_mov_b32_e32 v0, s7
	v_add_co_u32_e32 v4, vcc, s6, v2
	v_addc_co_u32_e32 v0, vcc, v0, v3, vcc
	v_lshlrev_b64 v[2:3], 10, v[36:37]
	v_add_co_u32_e32 v2, vcc, v4, v2
	v_addc_co_u32_e32 v0, vcc, v0, v3, vcc
	v_lshlrev_b32_e32 v1, 1, v1
	s_mov_b32 s0, 0
	v_add_co_u32_e32 v4, vcc, v2, v1
	s_mov_b32 s1, s0
	v_addc_co_u32_e32 v5, vcc, 0, v0, vcc
	s_mov_b32 s2, s0
	s_mov_b32 s3, s0
	v_pk_mov_b32 v[0:1], s[0:1], s[0:1] op_sel:[0,1]
	v_pk_mov_b32 v[2:3], s[2:3], s[2:3] op_sel:[0,1]
	global_store_dwordx4 v[4:5], v[0:3], off
	global_store_dwordx4 v[4:5], v[0:3], off offset:16
.LBB2_10:
	s_endpgm
.LBB2_11:
	s_or_b64 exec, exec, s[24:25]
	s_and_saveexec_b64 s[2:3], s[22:23]
	s_xor_b64 s[4:5], exec, s[2:3]
	s_cbranch_execz .LBB2_8
.LBB2_12:
	s_waitcnt vmcnt(0)
	v_cvt_f32_f16_sdwa v3, v8 dst_sel:DWORD dst_unused:UNUSED_PAD src0_sel:WORD_1
	v_cvt_f32_f16_e32 v2, v8
	v_cvt_f32_f16_sdwa v5, v9 dst_sel:DWORD dst_unused:UNUSED_PAD src0_sel:WORD_1
	v_cvt_f32_f16_e32 v4, v9
	;; [unrolled: 2-line block ×8, first 2 shown]
	s_and_saveexec_b64 s[2:3], s[0:1]
	s_cbranch_execz .LBB2_14
; %bb.13:
	v_pk_mul_f32 v[18:19], v[2:3], v[2:3]
	v_pk_mul_f32 v[20:21], v[4:5], v[4:5]
	v_add_f32_e32 v18, v18, v19
	v_add_f32_e32 v18, v20, v18
	v_pk_mul_f32 v[22:23], v[6:7], v[6:7]
	v_add_f32_e32 v18, v21, v18
	v_add_f32_e32 v18, v22, v18
	;; [unrolled: 3-line block ×4, first 2 shown]
	v_pk_mul_f32 v[28:29], v[12:13], v[12:13]
	v_add_f32_e32 v18, v27, v18
	v_mbcnt_lo_u32_b32 v19, -1, 0
	v_add_f32_e32 v18, v28, v18
	v_mbcnt_hi_u32_b32 v19, -1, v19
	v_pk_mul_f32 v[30:31], v[14:15], v[14:15]
	v_add_f32_e32 v18, v29, v18
	v_and_b32_e32 v20, 0x60, v19
	v_add_f32_e32 v18, v30, v18
	v_add_u32_e32 v20, 32, v20
	v_xor_b32_e32 v21, 16, v19
	v_pk_mul_f32 v[32:33], v[16:17], v[16:17]
	v_add_f32_e32 v18, v31, v18
	v_cmp_lt_i32_e64 s[0:1], v21, v20
	v_add_f32_e32 v18, v32, v18
	v_cndmask_b32_e64 v21, v19, v21, s[0:1]
	v_add_f32_e32 v18, v33, v18
	v_lshlrev_b32_e32 v21, 2, v21
	ds_bpermute_b32 v21, v21, v18
	s_waitcnt lgkmcnt(0)
	v_add_f32_e32 v18, v18, v21
	v_xor_b32_e32 v21, 8, v19
	v_cmp_lt_i32_e64 s[0:1], v21, v20
	v_cndmask_b32_e64 v21, v19, v21, s[0:1]
	v_lshlrev_b32_e32 v21, 2, v21
	ds_bpermute_b32 v21, v21, v18
	s_waitcnt lgkmcnt(0)
	v_add_f32_e32 v18, v18, v21
	v_xor_b32_e32 v21, 4, v19
	v_cmp_lt_i32_e64 s[0:1], v21, v20
	v_cndmask_b32_e64 v21, v19, v21, s[0:1]
	;; [unrolled: 7-line block ×4, first 2 shown]
	v_lshlrev_b32_e32 v19, 2, v19
	ds_bpermute_b32 v19, v19, v18
	s_mov_b32 s0, 0x800000
	s_waitcnt lgkmcnt(0)
	v_add_f32_e32 v18, v18, v19
	v_mov_b32_e32 v19, s16
	v_fmac_f32_e32 v19, 0x3b000000, v18
	v_mul_f32_e32 v18, 0x4b800000, v19
	v_cmp_gt_f32_e64 s[0:1], s0, v19
	v_cndmask_b32_e64 v18, v19, v18, s[0:1]
	v_rsq_f32_e32 v18, v18
	v_mul_f32_e32 v19, 0x45800000, v18
	v_cndmask_b32_e64 v18, v18, v19, s[0:1]
	v_pk_mul_f32 v[16:17], v[18:19], v[16:17] op_sel_hi:[0,1]
	v_pk_mul_f32 v[14:15], v[18:19], v[14:15] op_sel_hi:[0,1]
	;; [unrolled: 1-line block ×8, first 2 shown]
.LBB2_14:
	s_or_b64 exec, exec, s[2:3]
	v_cmp_gt_u32_e64 s[0:1], 28, v38
	v_cmp_lt_u32_e64 s[2:3], 27, v38
	s_and_saveexec_b64 s[16:17], s[2:3]
	s_cbranch_execz .LBB2_19
; %bb.15:
	v_lshlrev_b64 v[18:19], 3, v[34:35]
	s_waitcnt lgkmcnt(0)
	v_mov_b32_e32 v20, s13
	v_add_co_u32_e64 v18, s[2:3], s12, v18
	v_addc_co_u32_e64 v19, s[2:3], v20, v19, s[2:3]
	global_load_dwordx2 v[18:19], v[18:19], off
	v_add_u32_e32 v20, 0xfffffe40, v1
	v_mov_b32_e32 v22, s15
	v_mov_b32_e32 v21, 0
	v_lshrrev_b32_e32 v20, 1, v20
	v_lshlrev_b64 v[20:21], 2, v[20:21]
	s_waitcnt vmcnt(0)
	v_lshlrev_b64 v[18:19], 8, v[18:19]
	v_add_co_u32_e64 v18, s[2:3], s14, v18
	v_addc_co_u32_e64 v19, s[2:3], v22, v19, s[2:3]
	v_add_co_u32_e64 v18, s[2:3], v18, v20
	v_addc_co_u32_e64 v19, s[2:3], v19, v21, s[2:3]
	global_load_dwordx4 v[22:25], v[18:19], off offset:128
	global_load_dwordx4 v[30:33], v[18:19], off offset:144
	global_load_dwordx4 v[40:43], v[18:19], off
	global_load_dwordx4 v[44:47], v[18:19], off offset:16
	s_waitcnt vmcnt(3)
	v_mul_f32_e32 v18, v3, v22
	v_mul_f32_e32 v19, v2, v22
	;; [unrolled: 1-line block ×8, first 2 shown]
	s_waitcnt vmcnt(2)
	v_mul_f32_e32 v26, v11, v30
	v_mul_f32_e32 v27, v10, v30
	;; [unrolled: 1-line block ×8, first 2 shown]
	s_waitcnt vmcnt(1)
	v_fma_f32 v18, v2, v40, -v18
	v_fmac_f32_e32 v19, v3, v40
	v_fma_f32 v20, v4, v41, -v20
	v_fmac_f32_e32 v21, v5, v41
	;; [unrolled: 2-line block ×4, first 2 shown]
	s_waitcnt vmcnt(0)
	v_fma_f32 v26, v10, v44, -v26
	v_fmac_f32_e32 v27, v11, v44
	v_fma_f32 v28, v12, v45, -v28
	v_fmac_f32_e32 v29, v13, v45
	;; [unrolled: 2-line block ×4, first 2 shown]
	v_pk_mov_b32 v[2:3], v[18:19], v[18:19] op_sel:[0,1]
	v_pk_mov_b32 v[4:5], v[20:21], v[20:21] op_sel:[0,1]
	;; [unrolled: 1-line block ×8, first 2 shown]
	s_or_b64 exec, exec, s[16:17]
	s_and_saveexec_b64 s[2:3], vcc
	s_xor_b64 s[12:13], exec, s[2:3]
	s_cbranch_execnz .LBB2_20
.LBB2_16:
	s_andn2_saveexec_b64 s[0:1], s[12:13]
	s_cbranch_execz .LBB2_18
.LBB2_17:
	v_cvt_f16_f32_e32 v0, v2
	v_cvt_f16_f32_e32 v18, v3
	v_lshlrev_b64 v[2:3], 15, v[34:35]
	v_cvt_f16_f32_e32 v19, v4
	v_cvt_f16_f32_e32 v20, v5
	v_ashrrev_i32_e32 v37, 31, v36
	v_mov_b32_e32 v4, s7
	v_add_co_u32_e32 v5, vcc, s6, v2
	v_cvt_f16_f32_e32 v6, v6
	v_cvt_f16_f32_e32 v7, v7
	;; [unrolled: 1-line block ×4, first 2 shown]
	v_addc_co_u32_e32 v4, vcc, v4, v3, vcc
	v_lshlrev_b64 v[2:3], 10, v[36:37]
	v_cvt_f16_f32_e32 v10, v10
	v_cvt_f16_f32_e32 v11, v11
	;; [unrolled: 1-line block ×8, first 2 shown]
	v_add_co_u32_e32 v2, vcc, v5, v2
	v_addc_co_u32_e32 v3, vcc, v4, v3, vcc
	v_lshlrev_b32_e32 v1, 1, v1
	v_add_co_u32_e32 v4, vcc, v2, v1
	v_addc_co_u32_e32 v5, vcc, 0, v3, vcc
	v_pack_b32_f16 v3, v8, v9
	v_pack_b32_f16 v2, v6, v7
	;; [unrolled: 1-line block ×4, first 2 shown]
	global_store_dwordx4 v[4:5], v[0:3], off
	s_nop 0
	v_pack_b32_f16 v3, v16, v17
	v_pack_b32_f16 v2, v14, v15
	;; [unrolled: 1-line block ×4, first 2 shown]
	global_store_dwordx4 v[4:5], v[0:3], off offset:16
.LBB2_18:
	s_or_b64 exec, exec, s[0:1]
                                        ; implicit-def: $vgpr34
                                        ; implicit-def: $vgpr36
                                        ; implicit-def: $vgpr1
	s_andn2_saveexec_b64 s[0:1], s[4:5]
	s_cbranch_execnz .LBB2_9
	s_branch .LBB2_10
.LBB2_19:
	s_or_b64 exec, exec, s[16:17]
	s_and_saveexec_b64 s[2:3], vcc
	s_waitcnt lgkmcnt(0)
	s_xor_b64 s[12:13], exec, s[2:3]
	s_cbranch_execz .LBB2_16
.LBB2_20:
	v_lshlrev_b64 v[18:19], 3, v[34:35]
	v_mov_b32_e32 v20, s11
	v_add_co_u32_e32 v18, vcc, s10, v18
	v_addc_co_u32_e32 v19, vcc, v20, v19, vcc
	global_load_dwordx2 v[18:19], v[18:19], off
	s_waitcnt vmcnt(0)
	v_cmp_lt_i64_e32 vcc, -1, v[18:19]
	s_and_saveexec_b64 s[10:11], vcc
                                        ; implicit-def: $vgpr35
	s_cbranch_execz .LBB2_289
; %bb.21:
	s_ashr_i32 s22, s20, 31
	v_or_b32_e32 v21, s22, v19
	v_mov_b32_e32 v20, 0
	v_cmp_ne_u64_e32 vcc, 0, v[20:21]
                                        ; implicit-def: $vgpr22_vgpr23
	s_and_saveexec_b64 s[2:3], vcc
	s_xor_b64 s[14:15], exec, s[2:3]
	s_cbranch_execz .LBB2_23
; %bb.22:
	s_add_u32 s2, s20, s22
	s_mov_b32 s16, s22
	s_mov_b32 s17, s22
	s_addc_u32 s3, s22, s22
	s_xor_b64 s[18:19], s[2:3], s[16:17]
	v_cvt_f32_u32_e32 v20, s18
	v_cvt_f32_u32_e32 v21, s19
	s_sub_u32 s2, 0, s18
	s_subb_u32 s3, 0, s19
	v_madmk_f32 v20, v21, 0x4f800000, v20
	v_rcp_f32_e32 v20, v20
	v_mul_f32_e32 v20, 0x5f7ffffc, v20
	v_mul_f32_e32 v21, 0x2f800000, v20
	v_trunc_f32_e32 v21, v21
	v_madmk_f32 v20, v21, 0xcf800000, v20
	v_cvt_u32_f32_e32 v21, v21
	v_cvt_u32_f32_e32 v20, v20
	v_mul_lo_u32 v22, s2, v21
	v_mul_hi_u32 v24, s2, v20
	v_mul_lo_u32 v23, s3, v20
	v_add_u32_e32 v22, v24, v22
	v_mul_lo_u32 v25, s2, v20
	v_add_u32_e32 v22, v22, v23
	v_mul_lo_u32 v24, v20, v22
	v_mul_hi_u32 v26, v20, v25
	v_mul_hi_u32 v23, v20, v22
	v_add_co_u32_e32 v24, vcc, v26, v24
	v_addc_co_u32_e32 v23, vcc, 0, v23, vcc
	v_mul_hi_u32 v27, v21, v25
	v_mul_lo_u32 v25, v21, v25
	v_add_co_u32_e32 v24, vcc, v24, v25
	v_mul_hi_u32 v26, v21, v22
	v_addc_co_u32_e32 v23, vcc, v23, v27, vcc
	v_addc_co_u32_e32 v24, vcc, 0, v26, vcc
	v_mul_lo_u32 v22, v21, v22
	v_add_co_u32_e32 v22, vcc, v23, v22
	v_addc_co_u32_e32 v23, vcc, 0, v24, vcc
	v_add_co_u32_e32 v20, vcc, v20, v22
	v_addc_co_u32_e32 v21, vcc, v21, v23, vcc
	v_mul_lo_u32 v22, s2, v21
	v_mul_hi_u32 v23, s2, v20
	v_add_u32_e32 v22, v23, v22
	v_mul_lo_u32 v23, s3, v20
	v_add_u32_e32 v22, v22, v23
	v_mul_lo_u32 v24, s2, v20
	v_mul_hi_u32 v25, v21, v24
	v_mul_lo_u32 v26, v21, v24
	v_mul_lo_u32 v28, v20, v22
	v_mul_hi_u32 v24, v20, v24
	v_mul_hi_u32 v27, v20, v22
	v_add_co_u32_e32 v24, vcc, v24, v28
	v_addc_co_u32_e32 v27, vcc, 0, v27, vcc
	v_add_co_u32_e32 v24, vcc, v24, v26
	v_mul_hi_u32 v23, v21, v22
	v_addc_co_u32_e32 v24, vcc, v27, v25, vcc
	v_addc_co_u32_e32 v23, vcc, 0, v23, vcc
	v_mul_lo_u32 v22, v21, v22
	v_add_co_u32_e32 v22, vcc, v24, v22
	v_addc_co_u32_e32 v23, vcc, 0, v23, vcc
	v_add_co_u32_e32 v22, vcc, v20, v22
	v_addc_co_u32_e32 v23, vcc, v21, v23, vcc
	v_ashrrev_i32_e32 v24, 31, v19
	v_add_co_u32_e32 v20, vcc, v18, v24
	v_addc_co_u32_e32 v21, vcc, v19, v24, vcc
	v_xor_b32_e32 v26, v20, v24
	v_xor_b32_e32 v25, v21, v24
	v_mad_u64_u32 v[20:21], s[2:3], v26, v23, 0
	v_mul_hi_u32 v27, v26, v22
	v_add_co_u32_e32 v27, vcc, v27, v20
	v_addc_co_u32_e32 v28, vcc, 0, v21, vcc
	v_mad_u64_u32 v[20:21], s[2:3], v25, v23, 0
	v_mad_u64_u32 v[22:23], s[2:3], v25, v22, 0
	v_add_co_u32_e32 v22, vcc, v27, v22
	v_addc_co_u32_e32 v22, vcc, v28, v23, vcc
	v_addc_co_u32_e32 v21, vcc, 0, v21, vcc
	v_add_co_u32_e32 v22, vcc, v22, v20
	v_addc_co_u32_e32 v23, vcc, 0, v21, vcc
	v_mul_lo_u32 v27, s19, v22
	v_mul_lo_u32 v28, s18, v23
	v_mad_u64_u32 v[20:21], s[2:3], s18, v22, 0
	v_add3_u32 v21, v21, v28, v27
	v_sub_u32_e32 v27, v25, v21
	v_mov_b32_e32 v28, s19
	v_sub_co_u32_e32 v20, vcc, v26, v20
	v_subb_co_u32_e64 v26, s[2:3], v27, v28, vcc
	v_subrev_co_u32_e64 v27, s[2:3], s18, v20
	v_subbrev_co_u32_e64 v26, s[2:3], 0, v26, s[2:3]
	v_cmp_le_u32_e64 s[2:3], s19, v26
	v_cndmask_b32_e64 v28, 0, -1, s[2:3]
	v_cmp_le_u32_e64 s[2:3], s18, v27
	v_cndmask_b32_e64 v27, 0, -1, s[2:3]
	v_cmp_eq_u32_e64 s[2:3], s19, v26
	v_cndmask_b32_e64 v26, v28, v27, s[2:3]
	v_add_co_u32_e64 v27, s[2:3], 2, v22
	v_subb_co_u32_e32 v21, vcc, v25, v21, vcc
	v_addc_co_u32_e64 v28, s[2:3], 0, v23, s[2:3]
	v_cmp_le_u32_e32 vcc, s19, v21
	v_add_co_u32_e64 v29, s[2:3], 1, v22
	v_cndmask_b32_e64 v25, 0, -1, vcc
	v_cmp_le_u32_e32 vcc, s18, v20
	v_addc_co_u32_e64 v30, s[2:3], 0, v23, s[2:3]
	v_cndmask_b32_e64 v20, 0, -1, vcc
	v_cmp_eq_u32_e32 vcc, s19, v21
	v_cmp_ne_u32_e64 s[2:3], 0, v26
	v_cndmask_b32_e32 v20, v25, v20, vcc
	v_cmp_ne_u32_e32 vcc, 0, v20
	v_cndmask_b32_e64 v21, v29, v27, s[2:3]
	v_cndmask_b32_e64 v26, v30, v28, s[2:3]
	v_cndmask_b32_e32 v21, v22, v21, vcc
	v_xor_b32_e32 v22, s16, v24
	v_cndmask_b32_e32 v20, v23, v26, vcc
	v_xor_b32_e32 v23, s17, v24
	v_xor_b32_e32 v21, v21, v22
	;; [unrolled: 1-line block ×3, first 2 shown]
	v_sub_co_u32_e32 v22, vcc, v21, v22
	v_subb_co_u32_e32 v23, vcc, v20, v23, vcc
.LBB2_23:
	s_andn2_saveexec_b64 s[2:3], s[14:15]
	s_cbranch_execz .LBB2_25
; %bb.24:
	v_cvt_f32_u32_e32 v20, s20
	s_sub_i32 s14, 0, s20
	v_rcp_iflag_f32_e32 v20, v20
	v_mul_f32_e32 v20, 0x4f7ffffe, v20
	v_cvt_u32_f32_e32 v20, v20
	v_mul_lo_u32 v21, s14, v20
	v_mul_hi_u32 v21, v20, v21
	v_add_u32_e32 v20, v20, v21
	v_mul_hi_u32 v20, v18, v20
	v_mul_lo_u32 v21, v20, s20
	v_sub_u32_e32 v21, v18, v21
	v_add_u32_e32 v22, 1, v20
	v_subrev_u32_e32 v23, s20, v21
	v_cmp_le_u32_e32 vcc, s20, v21
	v_cndmask_b32_e32 v21, v21, v23, vcc
	v_cndmask_b32_e32 v20, v20, v22, vcc
	v_add_u32_e32 v22, 1, v20
	v_cmp_le_u32_e32 vcc, s20, v21
	v_cndmask_b32_e32 v22, v20, v22, vcc
	v_mov_b32_e32 v23, 0
.LBB2_25:
	s_or_b64 exec, exec, s[2:3]
	v_cvt_f16_f32_e32 v33, v2
	v_cvt_f16_f32_e32 v34, v3
	;; [unrolled: 1-line block ×8, first 2 shown]
	v_cvt_f32_f16_e32 v35, v33
	v_cvt_f32_f16_e32 v32, v34
	v_cvt_f16_f32_e32 v9, v10
	v_cvt_f16_f32_e32 v10, v11
	v_cvt_f32_f16_e32 v31, v4
	v_cvt_f32_f16_e32 v30, v5
	v_cvt_f16_f32_e32 v12, v12
	v_cvt_f16_f32_e32 v39, v13
	v_mul_lo_u32 v24, v23, s20
	v_mul_lo_u32 v25, v22, s22
	v_mad_u64_u32 v[20:21], s[2:3], v22, s20, 0
	v_cvt_f32_f16_e32 v29, v6
	v_cvt_f32_f16_e32 v28, v7
	v_cvt_f16_f32_e32 v14, v14
	v_cvt_f16_f32_e32 v40, v15
	v_add3_u32 v21, v21, v25, v24
	v_sub_co_u32_e32 v18, vcc, v18, v20
	v_cvt_f32_f16_e32 v24, v36
	v_cvt_f32_f16_e32 v26, v37
	v_cvt_f16_f32_e32 v16, v16
	v_cvt_f16_f32_e32 v17, v17
	v_subb_co_u32_e32 v19, vcc, v19, v21, vcc
	s_ashr_i32 s14, s21, 31
	v_pk_mov_b32 v[20:21], s[8:9], s[8:9] op_sel:[0,1]
	v_cvt_f32_f16_e32 v27, v9
	v_cvt_f32_f16_e32 v25, v10
	v_max3_f32 v2, |v35|, 0, |v32|
	v_mad_u64_u32 v[20:21], s[2:3], v22, s21, v[20:21]
	v_mul_lo_u32 v41, v23, s21
	v_mul_lo_u32 v42, v22, s14
	v_cvt_f32_f16_e32 v23, v12
	v_cvt_f32_f16_e32 v22, v39
	v_max3_f32 v2, v2, |v31|, |v30|
	v_cvt_f32_f16_e32 v15, v14
	v_cvt_f32_f16_e32 v13, v40
	v_max3_f32 v2, v2, |v29|, |v28|
	;; [unrolled: 3-line block ×3, first 2 shown]
	v_max3_f32 v2, v2, |v27|, |v25|
	v_max3_f32 v2, v2, |v23|, |v22|
	;; [unrolled: 1-line block ×4, first 2 shown]
	v_mbcnt_lo_u32_b32 v2, -1, 0
	v_mbcnt_hi_u32_b32 v44, -1, v2
	v_and_b32_e32 v3, 64, v44
	v_xor_b32_e32 v2, 1, v44
	v_add_u32_e32 v45, 64, v3
	v_cmp_lt_i32_e32 vcc, v2, v45
	v_cndmask_b32_e32 v2, v44, v2, vcc
	v_lshlrev_b32_e32 v2, 2, v2
	ds_bpermute_b32 v46, v2, v43
	v_add3_u32 v21, v41, v21, v42
	v_xor_b32_e32 v42, 2, v44
	v_cmp_lt_i32_e32 vcc, v42, v45
	v_cndmask_b32_e32 v42, v44, v42, vcc
	s_waitcnt lgkmcnt(0)
	v_max_f32_e32 v41, v46, v46
	v_max_f32_e32 v41, v43, v41
	v_lshlrev_b32_e32 v42, 2, v42
	s_movk_i32 s8, 0x240
	ds_bpermute_b32 v42, v42, v41
	v_mad_u64_u32 v[2:3], s[2:3], v18, s8, v[20:21]
	v_mov_b32_e32 v44, v3
	v_mad_u64_u32 v[44:45], s[2:3], v19, s8, v[44:45]
	v_mov_b32_e32 v3, v44
	s_and_saveexec_b64 s[2:3], s[0:1]
	s_xor_b64 s[2:3], exec, s[2:3]
	s_cbranch_execz .LBB2_287
; %bb.26:
	s_mov_b32 s0, 0x38d1b717
	s_waitcnt lgkmcnt(0)
	v_max3_f32 v4, v41, v42, s0
	s_mov_b32 s8, 0x43e00000
	v_div_scale_f32 v5, s[0:1], s8, s8, v4
	v_rcp_f32_e32 v6, v5
	s_mov_b32 s0, 0x800000
	v_fma_f32 v7, -v5, v6, 1.0
	v_fmac_f32_e32 v6, v7, v6
	v_div_scale_f32 v7, vcc, v4, s8, v4
	v_mul_f32_e32 v9, v7, v6
	v_fma_f32 v10, -v5, v9, v7
	v_fmac_f32_e32 v9, v10, v6
	v_fma_f32 v5, -v5, v9, v7
	v_div_fmas_f32 v5, v5, v6, v9
	v_div_fixup_f32 v4, v5, s8, v4
	v_mov_b32_e32 v5, 0x4f800000
	v_cmp_gt_f32_e32 vcc, s0, v4
	v_cndmask_b32_e32 v5, 1.0, v5, vcc
	v_mul_f32_e32 v4, v4, v5
	v_log_f32_e32 v4, v4
	v_mov_b32_e32 v5, 0x42000000
	v_cndmask_b32_e32 v5, 0, v5, vcc
	s_mov_b32 s0, 0x42fc0000
	v_sub_f32_e32 v4, v4, v5
	v_ceil_f32_e32 v6, v4
	v_mov_b32_e32 v4, 0x42800000
	v_cmp_lt_f32_e32 vcc, s0, v6
	v_cndmask_b32_e32 v4, 0, v4, vcc
	v_sub_f32_e32 v4, v4, v6
	v_exp_f32_e32 v4, v4
	v_mov_b32_e32 v5, 0x1f800000
	v_cndmask_b32_e32 v5, 1.0, v5, vcc
	s_movk_i32 s0, 0x80
	v_mul_f32_e32 v9, v4, v5
	v_mul_f32_e32 v4, v9, v35
	v_max_f32_e32 v4, 0xc3e00000, v4
	v_min_f32_e32 v12, 0x43e00000, v4
	v_mov_b32_e32 v5, 0
	v_and_b32_sdwa v10, v12, s0 dst_sel:DWORD dst_unused:UNUSED_PAD src0_sel:BYTE_3 src1_sel:DWORD
	v_and_b32_e32 v16, 0x7f800000, v12
	v_mov_b32_e32 v17, v5
	s_mov_b64 s[0:1], 0x7f800000
	v_and_b32_e32 v4, 0x7fffff, v12
	v_or_b32_e32 v7, 0x7e, v10
	v_cmp_ne_u64_e32 vcc, s[0:1], v[16:17]
	s_and_saveexec_b64 s[0:1], vcc
	s_xor_b64 s[8:9], exec, s[0:1]
	s_cbranch_execz .LBB2_40
; %bb.27:
	v_and_b32_e32 v16, 0x7fffffff, v12
	v_mov_b32_e32 v17, v5
	s_mov_b64 s[0:1], 0x43e00001
	v_cmp_gt_u64_e32 vcc, s[0:1], v[16:17]
	s_and_saveexec_b64 s[0:1], vcc
	s_xor_b64 s[14:15], exec, s[0:1]
	s_cbranch_execz .LBB2_39
; %bb.28:
	v_cmp_ne_u32_e32 vcc, 0, v12
	v_mov_b32_e32 v7, 0
	s_and_saveexec_b64 s[16:17], vcc
	s_cbranch_execz .LBB2_38
; %bb.29:
	v_bfe_u32 v7, v12, 23, 8
	s_movk_i32 s0, 0x7a
	v_sub_u32_e32 v14, 0x79, v7
	v_cmp_gt_u32_e32 vcc, s0, v7
	v_add_u32_e32 v12, 0xffffff81, v7
	v_cndmask_b32_e32 v14, 0, v14, vcc
	v_mov_b32_e32 v17, 0xffffff82
	v_cmp_eq_u32_e32 vcc, 0, v7
	v_cndmask_b32_e32 v7, v12, v17, vcc
	v_mov_b32_e32 v12, 0x78
	v_cndmask_b32_e32 v12, v14, v12, vcc
	v_or_b32_e32 v16, 0x800000, v4
	v_add_u32_e32 v14, 20, v12
	v_cndmask_b32_e32 v4, v16, v4, vcc
	v_lshlrev_b64 v[16:17], v14, -1
	v_not_b32_e32 v14, v17
	v_not_b32_e32 v16, v16
	v_and_b32_e32 v17, 0, v14
	v_and_b32_e32 v16, v4, v16
	v_add_u32_e32 v14, 19, v12
	v_lshrrev_b64 v[4:5], v12, v[4:5]
	v_lshlrev_b64 v[34:35], v14, 1
	v_lshrrev_b32_e32 v14, 23, v4
	v_add3_u32 v14, v12, v7, v14
	v_bfe_u32 v12, v4, 20, 1
	v_add_u32_e32 v12, -1, v12
	v_cmp_eq_u64_e32 vcc, v[16:17], v[34:35]
	v_cndmask_b32_e32 v12, 0, v12, vcc
	v_add_u32_e32 v12, v12, v4
	v_and_b32_e32 v12, 0xfffff, v12
	v_add_co_u32_e32 v4, vcc, v12, v4
	v_add_u32_e32 v7, 6, v14
	v_addc_co_u32_e32 v5, vcc, 0, v5, vcc
	v_cmp_ne_u32_e32 vcc, 0, v7
                                        ; implicit-def: $vgpr12
	s_and_saveexec_b64 s[0:1], vcc
	s_xor_b64 s[0:1], exec, s[0:1]
; %bb.30:
	s_mov_b64 s[18:19], 0xffffff
	v_add_u32_e32 v12, 7, v14
	v_cmp_lt_u64_e32 vcc, s[18:19], v[4:5]
	v_cndmask_b32_e32 v12, v7, v12, vcc
	v_cndmask_b32_e64 v7, 0, 1, vcc
	v_lshrrev_b64 v[4:5], v7, v[4:5]
; %bb.31:
	s_andn2_saveexec_b64 s[0:1], s[0:1]
; %bb.32:
	v_bfe_u32 v12, v4, 23, 1
; %bb.33:
	s_or_b64 exec, exec, s[0:1]
	v_lshrrev_b64 v[4:5], 20, v[4:5]
	v_cmp_gt_i32_e32 vcc, 16, v12
	v_cndmask_b32_e32 v5, 0, v5, vcc
	v_cndmask_b32_e32 v4, 7, v4, vcc
	v_cmp_ne_u32_e32 vcc, 0, v12
	v_cmp_ne_u64_e64 s[0:1], 0, v[4:5]
	s_or_b64 s[0:1], vcc, s[0:1]
                                        ; implicit-def: $vgpr7
	s_and_saveexec_b64 s[18:19], s[0:1]
	s_xor_b64 s[0:1], exec, s[18:19]
; %bb.34:
	v_min_i32_e32 v5, 15, v12
	v_lshl_or_b32 v5, v5, 3, v10
	v_and_or_b32 v7, v4, 7, v5
                                        ; implicit-def: $vgpr10
; %bb.35:
	s_andn2_saveexec_b64 s[0:1], s[0:1]
; %bb.36:
	v_mov_b32_e32 v7, v10
; %bb.37:
	s_or_b64 exec, exec, s[0:1]
.LBB2_38:
	s_or_b64 exec, exec, s[16:17]
.LBB2_39:
	s_andn2_saveexec_b64 s[0:1], s[14:15]
	s_or_b64 exec, exec, s[0:1]
                                        ; implicit-def: $vgpr12
                                        ; implicit-def: $vgpr4_vgpr5
.LBB2_40:
	s_andn2_saveexec_b64 s[0:1], s[8:9]
; %bb.41:
	s_movk_i32 s8, 0x7f
	v_or_b32_sdwa v10, v12, s8 dst_sel:DWORD dst_unused:UNUSED_PAD src0_sel:BYTE_3 src1_sel:DWORD
	v_cmp_eq_u64_e32 vcc, 0, v[4:5]
	v_cndmask_b32_e32 v7, v10, v7, vcc
; %bb.42:
	s_or_b64 exec, exec, s[0:1]
	v_mul_f32_e32 v4, v9, v32
	v_max_f32_e32 v4, 0xc3e00000, v4
	v_min_f32_e32 v14, 0x43e00000, v4
	v_mov_b32_e32 v5, 0
	s_movk_i32 s0, 0x80
	v_and_b32_sdwa v12, v14, s0 dst_sel:DWORD dst_unused:UNUSED_PAD src0_sel:BYTE_3 src1_sel:DWORD
	v_and_b32_e32 v16, 0x7f800000, v14
	v_mov_b32_e32 v17, v5
	s_mov_b64 s[0:1], 0x7f800000
	v_and_b32_e32 v4, 0x7fffff, v14
	v_or_b32_e32 v10, 0x7e, v12
	v_cmp_ne_u64_e32 vcc, s[0:1], v[16:17]
	s_and_saveexec_b64 s[0:1], vcc
	s_xor_b64 s[8:9], exec, s[0:1]
	s_cbranch_execz .LBB2_56
; %bb.43:
	v_and_b32_e32 v16, 0x7fffffff, v14
	v_mov_b32_e32 v17, v5
	s_mov_b64 s[0:1], 0x43e00001
	v_cmp_gt_u64_e32 vcc, s[0:1], v[16:17]
	s_and_saveexec_b64 s[0:1], vcc
	s_xor_b64 s[14:15], exec, s[0:1]
	s_cbranch_execz .LBB2_55
; %bb.44:
	v_cmp_ne_u32_e32 vcc, 0, v14
	v_mov_b32_e32 v10, 0
	s_and_saveexec_b64 s[16:17], vcc
	s_cbranch_execz .LBB2_54
; %bb.45:
	v_bfe_u32 v10, v14, 23, 8
	s_movk_i32 s0, 0x7a
	v_sub_u32_e32 v16, 0x79, v10
	v_cmp_gt_u32_e32 vcc, s0, v10
	v_add_u32_e32 v14, 0xffffff81, v10
	v_cndmask_b32_e32 v16, 0, v16, vcc
	v_mov_b32_e32 v32, 0xffffff82
	v_cmp_eq_u32_e32 vcc, 0, v10
	v_cndmask_b32_e32 v10, v14, v32, vcc
	v_mov_b32_e32 v14, 0x78
	v_cndmask_b32_e32 v14, v16, v14, vcc
	v_or_b32_e32 v17, 0x800000, v4
	v_add_u32_e32 v16, 20, v14
	v_cndmask_b32_e32 v4, v17, v4, vcc
	v_lshlrev_b64 v[16:17], v16, -1
	v_not_b32_e32 v16, v16
	v_and_b32_e32 v32, v4, v16
	v_add_u32_e32 v16, 19, v14
	v_lshrrev_b64 v[4:5], v14, v[4:5]
	v_not_b32_e32 v17, v17
	v_lshlrev_b64 v[34:35], v16, 1
	v_lshrrev_b32_e32 v16, 23, v4
	v_and_b32_e32 v33, 0, v17
	v_add3_u32 v16, v14, v10, v16
	v_bfe_u32 v14, v4, 20, 1
	v_add_u32_e32 v14, -1, v14
	v_cmp_eq_u64_e32 vcc, v[32:33], v[34:35]
	v_cndmask_b32_e32 v14, 0, v14, vcc
	v_add_u32_e32 v14, v14, v4
	v_and_b32_e32 v14, 0xfffff, v14
	v_add_co_u32_e32 v4, vcc, v14, v4
	v_add_u32_e32 v10, 6, v16
	v_addc_co_u32_e32 v5, vcc, 0, v5, vcc
	v_cmp_ne_u32_e32 vcc, 0, v10
                                        ; implicit-def: $vgpr14
	s_and_saveexec_b64 s[0:1], vcc
	s_xor_b64 s[0:1], exec, s[0:1]
; %bb.46:
	s_mov_b64 s[18:19], 0xffffff
	v_add_u32_e32 v14, 7, v16
	v_cmp_lt_u64_e32 vcc, s[18:19], v[4:5]
	v_cndmask_b32_e32 v14, v10, v14, vcc
	v_cndmask_b32_e64 v10, 0, 1, vcc
	v_lshrrev_b64 v[4:5], v10, v[4:5]
; %bb.47:
	s_andn2_saveexec_b64 s[0:1], s[0:1]
; %bb.48:
	v_bfe_u32 v14, v4, 23, 1
; %bb.49:
	s_or_b64 exec, exec, s[0:1]
	v_lshrrev_b64 v[4:5], 20, v[4:5]
	v_cmp_gt_i32_e32 vcc, 16, v14
	v_cndmask_b32_e32 v5, 0, v5, vcc
	v_cndmask_b32_e32 v4, 7, v4, vcc
	v_cmp_ne_u32_e32 vcc, 0, v14
	v_cmp_ne_u64_e64 s[0:1], 0, v[4:5]
	s_or_b64 s[0:1], vcc, s[0:1]
                                        ; implicit-def: $vgpr10
	s_and_saveexec_b64 s[18:19], s[0:1]
	s_xor_b64 s[0:1], exec, s[18:19]
; %bb.50:
	v_min_i32_e32 v5, 15, v14
	v_lshl_or_b32 v5, v5, 3, v12
	v_and_or_b32 v10, v4, 7, v5
                                        ; implicit-def: $vgpr12
; %bb.51:
	s_andn2_saveexec_b64 s[0:1], s[0:1]
; %bb.52:
	v_mov_b32_e32 v10, v12
; %bb.53:
	s_or_b64 exec, exec, s[0:1]
.LBB2_54:
	s_or_b64 exec, exec, s[16:17]
.LBB2_55:
	s_andn2_saveexec_b64 s[0:1], s[14:15]
	s_or_b64 exec, exec, s[0:1]
                                        ; implicit-def: $vgpr14
                                        ; implicit-def: $vgpr4_vgpr5
.LBB2_56:
	s_andn2_saveexec_b64 s[0:1], s[8:9]
; %bb.57:
	s_movk_i32 s8, 0x7f
	v_or_b32_sdwa v12, v14, s8 dst_sel:DWORD dst_unused:UNUSED_PAD src0_sel:BYTE_3 src1_sel:DWORD
	v_cmp_eq_u64_e32 vcc, 0, v[4:5]
	v_cndmask_b32_e32 v10, v12, v10, vcc
; %bb.58:
	s_or_b64 exec, exec, s[0:1]
	v_mul_f32_e32 v4, v9, v31
	v_max_f32_e32 v4, 0xc3e00000, v4
	v_min_f32_e32 v16, 0x43e00000, v4
	v_mov_b32_e32 v5, 0
	s_movk_i32 s0, 0x80
	v_and_b32_sdwa v14, v16, s0 dst_sel:DWORD dst_unused:UNUSED_PAD src0_sel:BYTE_3 src1_sel:DWORD
	v_and_b32_e32 v32, 0x7f800000, v16
	v_mov_b32_e32 v33, v5
	s_mov_b64 s[0:1], 0x7f800000
	v_and_b32_e32 v4, 0x7fffff, v16
	v_or_b32_e32 v12, 0x7e, v14
	v_cmp_ne_u64_e32 vcc, s[0:1], v[32:33]
	s_and_saveexec_b64 s[0:1], vcc
	s_xor_b64 s[8:9], exec, s[0:1]
	s_cbranch_execz .LBB2_72
; %bb.59:
	v_and_b32_e32 v32, 0x7fffffff, v16
	v_mov_b32_e32 v33, v5
	s_mov_b64 s[0:1], 0x43e00001
	v_cmp_gt_u64_e32 vcc, s[0:1], v[32:33]
	s_and_saveexec_b64 s[0:1], vcc
	s_xor_b64 s[14:15], exec, s[0:1]
	s_cbranch_execz .LBB2_71
; %bb.60:
	v_cmp_ne_u32_e32 vcc, 0, v16
	v_mov_b32_e32 v12, 0
	s_and_saveexec_b64 s[16:17], vcc
	s_cbranch_execz .LBB2_70
; %bb.61:
	v_bfe_u32 v12, v16, 23, 8
	s_movk_i32 s0, 0x7a
	v_sub_u32_e32 v17, 0x79, v12
	v_cmp_gt_u32_e32 vcc, s0, v12
	v_add_u32_e32 v16, 0xffffff81, v12
	v_cndmask_b32_e32 v17, 0, v17, vcc
	v_mov_b32_e32 v32, 0xffffff82
	v_cmp_eq_u32_e32 vcc, 0, v12
	v_cndmask_b32_e32 v12, v16, v32, vcc
	v_mov_b32_e32 v16, 0x78
	v_cndmask_b32_e32 v36, v17, v16, vcc
	v_add_u32_e32 v16, 20, v36
	v_or_b32_e32 v31, 0x800000, v4
	v_lshlrev_b64 v[16:17], v16, -1
	v_cndmask_b32_e32 v4, v31, v4, vcc
	v_not_b32_e32 v16, v16
	v_and_b32_e32 v32, v4, v16
	v_add_u32_e32 v16, 19, v36
	v_lshrrev_b64 v[4:5], v36, v[4:5]
	v_not_b32_e32 v17, v17
	v_lshlrev_b64 v[34:35], v16, 1
	v_lshrrev_b32_e32 v16, 23, v4
	v_and_b32_e32 v33, 0, v17
	v_add3_u32 v17, v36, v12, v16
	v_bfe_u32 v16, v4, 20, 1
	v_add_u32_e32 v16, -1, v16
	v_cmp_eq_u64_e32 vcc, v[32:33], v[34:35]
	v_cndmask_b32_e32 v16, 0, v16, vcc
	v_add_u32_e32 v16, v16, v4
	v_and_b32_e32 v16, 0xfffff, v16
	v_add_co_u32_e32 v4, vcc, v16, v4
	v_add_u32_e32 v12, 6, v17
	v_addc_co_u32_e32 v5, vcc, 0, v5, vcc
	v_cmp_ne_u32_e32 vcc, 0, v12
                                        ; implicit-def: $vgpr16
	s_and_saveexec_b64 s[0:1], vcc
	s_xor_b64 s[0:1], exec, s[0:1]
; %bb.62:
	s_mov_b64 s[18:19], 0xffffff
	v_add_u32_e32 v16, 7, v17
	v_cmp_lt_u64_e32 vcc, s[18:19], v[4:5]
	v_cndmask_b32_e32 v16, v12, v16, vcc
	v_cndmask_b32_e64 v12, 0, 1, vcc
	v_lshrrev_b64 v[4:5], v12, v[4:5]
; %bb.63:
	s_andn2_saveexec_b64 s[0:1], s[0:1]
; %bb.64:
	v_bfe_u32 v16, v4, 23, 1
; %bb.65:
	s_or_b64 exec, exec, s[0:1]
	v_lshrrev_b64 v[4:5], 20, v[4:5]
	v_cmp_gt_i32_e32 vcc, 16, v16
	v_cndmask_b32_e32 v5, 0, v5, vcc
	v_cndmask_b32_e32 v4, 7, v4, vcc
	v_cmp_ne_u32_e32 vcc, 0, v16
	v_cmp_ne_u64_e64 s[0:1], 0, v[4:5]
	s_or_b64 s[0:1], vcc, s[0:1]
                                        ; implicit-def: $vgpr12
	s_and_saveexec_b64 s[18:19], s[0:1]
	s_xor_b64 s[0:1], exec, s[18:19]
; %bb.66:
	v_min_i32_e32 v5, 15, v16
	v_lshl_or_b32 v5, v5, 3, v14
	v_and_or_b32 v12, v4, 7, v5
                                        ; implicit-def: $vgpr14
; %bb.67:
	s_andn2_saveexec_b64 s[0:1], s[0:1]
; %bb.68:
	v_mov_b32_e32 v12, v14
; %bb.69:
	s_or_b64 exec, exec, s[0:1]
.LBB2_70:
	s_or_b64 exec, exec, s[16:17]
.LBB2_71:
	s_andn2_saveexec_b64 s[0:1], s[14:15]
	s_or_b64 exec, exec, s[0:1]
                                        ; implicit-def: $vgpr16
                                        ; implicit-def: $vgpr4_vgpr5
.LBB2_72:
	s_andn2_saveexec_b64 s[0:1], s[8:9]
; %bb.73:
	s_movk_i32 s8, 0x7f
	v_or_b32_sdwa v14, v16, s8 dst_sel:DWORD dst_unused:UNUSED_PAD src0_sel:BYTE_3 src1_sel:DWORD
	v_cmp_eq_u64_e32 vcc, 0, v[4:5]
	v_cndmask_b32_e32 v12, v14, v12, vcc
; %bb.74:
	s_or_b64 exec, exec, s[0:1]
	v_mul_f32_e32 v4, v9, v30
	v_max_f32_e32 v4, 0xc3e00000, v4
	v_min_f32_e32 v17, 0x43e00000, v4
	v_mov_b32_e32 v5, 0
	s_movk_i32 s0, 0x80
	v_and_b32_sdwa v16, v17, s0 dst_sel:DWORD dst_unused:UNUSED_PAD src0_sel:BYTE_3 src1_sel:DWORD
	v_and_b32_e32 v30, 0x7f800000, v17
	v_mov_b32_e32 v31, v5
	s_mov_b64 s[0:1], 0x7f800000
	v_and_b32_e32 v4, 0x7fffff, v17
	v_or_b32_e32 v14, 0x7e, v16
	v_cmp_ne_u64_e32 vcc, s[0:1], v[30:31]
	s_and_saveexec_b64 s[0:1], vcc
	s_xor_b64 s[8:9], exec, s[0:1]
	s_cbranch_execz .LBB2_88
; %bb.75:
	v_and_b32_e32 v30, 0x7fffffff, v17
	v_mov_b32_e32 v31, v5
	s_mov_b64 s[0:1], 0x43e00001
	v_cmp_gt_u64_e32 vcc, s[0:1], v[30:31]
	s_and_saveexec_b64 s[0:1], vcc
	s_xor_b64 s[14:15], exec, s[0:1]
	s_cbranch_execz .LBB2_87
; %bb.76:
	v_cmp_ne_u32_e32 vcc, 0, v17
	v_mov_b32_e32 v14, 0
	s_and_saveexec_b64 s[16:17], vcc
	s_cbranch_execz .LBB2_86
; %bb.77:
	v_bfe_u32 v14, v17, 23, 8
	s_movk_i32 s0, 0x7a
	v_sub_u32_e32 v30, 0x79, v14
	v_cmp_gt_u32_e32 vcc, s0, v14
	v_add_u32_e32 v17, 0xffffff81, v14
	v_cndmask_b32_e32 v30, 0, v30, vcc
	v_mov_b32_e32 v32, 0xffffff82
	v_cmp_eq_u32_e32 vcc, 0, v14
	v_cndmask_b32_e32 v14, v17, v32, vcc
	v_mov_b32_e32 v17, 0x78
	v_cndmask_b32_e32 v17, v30, v17, vcc
	v_or_b32_e32 v31, 0x800000, v4
	v_add_u32_e32 v30, 20, v17
	v_cndmask_b32_e32 v4, v31, v4, vcc
	v_lshlrev_b64 v[30:31], v30, -1
	v_not_b32_e32 v30, v30
	v_and_b32_e32 v32, v4, v30
	v_add_u32_e32 v30, 19, v17
	v_lshrrev_b64 v[4:5], v17, v[4:5]
	v_not_b32_e32 v31, v31
	v_lshlrev_b64 v[34:35], v30, 1
	v_lshrrev_b32_e32 v30, 23, v4
	v_and_b32_e32 v33, 0, v31
	v_add3_u32 v30, v17, v14, v30
	v_bfe_u32 v17, v4, 20, 1
	v_add_u32_e32 v17, -1, v17
	v_cmp_eq_u64_e32 vcc, v[32:33], v[34:35]
	v_cndmask_b32_e32 v17, 0, v17, vcc
	v_add_u32_e32 v17, v17, v4
	v_and_b32_e32 v17, 0xfffff, v17
	v_add_co_u32_e32 v4, vcc, v17, v4
	v_add_u32_e32 v14, 6, v30
	v_addc_co_u32_e32 v5, vcc, 0, v5, vcc
	v_cmp_ne_u32_e32 vcc, 0, v14
                                        ; implicit-def: $vgpr17
	s_and_saveexec_b64 s[0:1], vcc
	s_xor_b64 s[0:1], exec, s[0:1]
; %bb.78:
	s_mov_b64 s[18:19], 0xffffff
	v_add_u32_e32 v17, 7, v30
	v_cmp_lt_u64_e32 vcc, s[18:19], v[4:5]
	v_cndmask_b32_e32 v17, v14, v17, vcc
	v_cndmask_b32_e64 v14, 0, 1, vcc
	v_lshrrev_b64 v[4:5], v14, v[4:5]
; %bb.79:
	s_andn2_saveexec_b64 s[0:1], s[0:1]
; %bb.80:
	v_bfe_u32 v17, v4, 23, 1
; %bb.81:
	s_or_b64 exec, exec, s[0:1]
	v_lshrrev_b64 v[4:5], 20, v[4:5]
	v_cmp_gt_i32_e32 vcc, 16, v17
	v_cndmask_b32_e32 v5, 0, v5, vcc
	v_cndmask_b32_e32 v4, 7, v4, vcc
	v_cmp_ne_u32_e32 vcc, 0, v17
	v_cmp_ne_u64_e64 s[0:1], 0, v[4:5]
	s_or_b64 s[0:1], vcc, s[0:1]
                                        ; implicit-def: $vgpr14
	s_and_saveexec_b64 s[18:19], s[0:1]
	s_xor_b64 s[0:1], exec, s[18:19]
; %bb.82:
	v_min_i32_e32 v5, 15, v17
	v_lshl_or_b32 v5, v5, 3, v16
	v_and_or_b32 v14, v4, 7, v5
                                        ; implicit-def: $vgpr16
; %bb.83:
	s_andn2_saveexec_b64 s[0:1], s[0:1]
; %bb.84:
	v_mov_b32_e32 v14, v16
; %bb.85:
	s_or_b64 exec, exec, s[0:1]
.LBB2_86:
	s_or_b64 exec, exec, s[16:17]
.LBB2_87:
	s_andn2_saveexec_b64 s[0:1], s[14:15]
	s_or_b64 exec, exec, s[0:1]
                                        ; implicit-def: $vgpr17
                                        ; implicit-def: $vgpr4_vgpr5
.LBB2_88:
	s_andn2_saveexec_b64 s[0:1], s[8:9]
; %bb.89:
	s_movk_i32 s8, 0x7f
	v_or_b32_sdwa v16, v17, s8 dst_sel:DWORD dst_unused:UNUSED_PAD src0_sel:BYTE_3 src1_sel:DWORD
	v_cmp_eq_u64_e32 vcc, 0, v[4:5]
	v_cndmask_b32_e32 v14, v16, v14, vcc
; %bb.90:
	s_or_b64 exec, exec, s[0:1]
	v_mul_f32_e32 v4, v9, v29
	v_max_f32_e32 v4, 0xc3e00000, v4
	v_min_f32_e32 v29, 0x43e00000, v4
	v_mov_b32_e32 v5, 0
	s_movk_i32 s0, 0x80
	v_and_b32_sdwa v17, v29, s0 dst_sel:DWORD dst_unused:UNUSED_PAD src0_sel:BYTE_3 src1_sel:DWORD
	v_and_b32_e32 v30, 0x7f800000, v29
	v_mov_b32_e32 v31, v5
	s_mov_b64 s[0:1], 0x7f800000
	v_and_b32_e32 v4, 0x7fffff, v29
	v_or_b32_e32 v16, 0x7e, v17
	v_cmp_ne_u64_e32 vcc, s[0:1], v[30:31]
	s_and_saveexec_b64 s[0:1], vcc
	s_xor_b64 s[8:9], exec, s[0:1]
	s_cbranch_execz .LBB2_104
; %bb.91:
	v_and_b32_e32 v30, 0x7fffffff, v29
	v_mov_b32_e32 v31, v5
	s_mov_b64 s[0:1], 0x43e00001
	v_cmp_gt_u64_e32 vcc, s[0:1], v[30:31]
	s_and_saveexec_b64 s[0:1], vcc
	s_xor_b64 s[14:15], exec, s[0:1]
	s_cbranch_execz .LBB2_103
; %bb.92:
	v_cmp_ne_u32_e32 vcc, 0, v29
	v_mov_b32_e32 v16, 0
	s_and_saveexec_b64 s[16:17], vcc
	s_cbranch_execz .LBB2_102
; %bb.93:
	v_bfe_u32 v16, v29, 23, 8
	s_movk_i32 s0, 0x7a
	v_sub_u32_e32 v30, 0x79, v16
	v_cmp_gt_u32_e32 vcc, s0, v16
	v_add_u32_e32 v29, 0xffffff81, v16
	v_cndmask_b32_e32 v30, 0, v30, vcc
	v_mov_b32_e32 v32, 0xffffff82
	v_cmp_eq_u32_e32 vcc, 0, v16
	v_cndmask_b32_e32 v16, v29, v32, vcc
	v_mov_b32_e32 v29, 0x78
	v_cndmask_b32_e32 v29, v30, v29, vcc
	v_or_b32_e32 v31, 0x800000, v4
	v_add_u32_e32 v30, 20, v29
	v_cndmask_b32_e32 v4, v31, v4, vcc
	v_lshlrev_b64 v[30:31], v30, -1
	v_not_b32_e32 v30, v30
	v_and_b32_e32 v32, v4, v30
	v_add_u32_e32 v30, 19, v29
	v_lshrrev_b64 v[4:5], v29, v[4:5]
	v_not_b32_e32 v31, v31
	v_lshlrev_b64 v[34:35], v30, 1
	v_lshrrev_b32_e32 v30, 23, v4
	v_and_b32_e32 v33, 0, v31
	v_add3_u32 v30, v29, v16, v30
	v_bfe_u32 v29, v4, 20, 1
	v_add_u32_e32 v29, -1, v29
	v_cmp_eq_u64_e32 vcc, v[32:33], v[34:35]
	v_cndmask_b32_e32 v29, 0, v29, vcc
	v_add_u32_e32 v29, v29, v4
	v_and_b32_e32 v29, 0xfffff, v29
	v_add_co_u32_e32 v4, vcc, v29, v4
	v_add_u32_e32 v16, 6, v30
	v_addc_co_u32_e32 v5, vcc, 0, v5, vcc
	v_cmp_ne_u32_e32 vcc, 0, v16
                                        ; implicit-def: $vgpr29
	s_and_saveexec_b64 s[0:1], vcc
	s_xor_b64 s[0:1], exec, s[0:1]
; %bb.94:
	s_mov_b64 s[18:19], 0xffffff
	v_add_u32_e32 v29, 7, v30
	v_cmp_lt_u64_e32 vcc, s[18:19], v[4:5]
	v_cndmask_b32_e32 v29, v16, v29, vcc
	v_cndmask_b32_e64 v16, 0, 1, vcc
	v_lshrrev_b64 v[4:5], v16, v[4:5]
; %bb.95:
	s_andn2_saveexec_b64 s[0:1], s[0:1]
; %bb.96:
	v_bfe_u32 v29, v4, 23, 1
; %bb.97:
	s_or_b64 exec, exec, s[0:1]
	v_lshrrev_b64 v[4:5], 20, v[4:5]
	v_cmp_gt_i32_e32 vcc, 16, v29
	v_cndmask_b32_e32 v5, 0, v5, vcc
	v_cndmask_b32_e32 v4, 7, v4, vcc
	v_cmp_ne_u32_e32 vcc, 0, v29
	v_cmp_ne_u64_e64 s[0:1], 0, v[4:5]
	s_or_b64 s[0:1], vcc, s[0:1]
                                        ; implicit-def: $vgpr16
	s_and_saveexec_b64 s[18:19], s[0:1]
	s_xor_b64 s[0:1], exec, s[18:19]
; %bb.98:
	v_min_i32_e32 v5, 15, v29
	v_lshl_or_b32 v5, v5, 3, v17
	v_and_or_b32 v16, v4, 7, v5
                                        ; implicit-def: $vgpr17
; %bb.99:
	s_andn2_saveexec_b64 s[0:1], s[0:1]
; %bb.100:
	v_mov_b32_e32 v16, v17
; %bb.101:
	s_or_b64 exec, exec, s[0:1]
.LBB2_102:
	s_or_b64 exec, exec, s[16:17]
.LBB2_103:
	s_andn2_saveexec_b64 s[0:1], s[14:15]
	s_or_b64 exec, exec, s[0:1]
                                        ; implicit-def: $vgpr29
                                        ; implicit-def: $vgpr4_vgpr5
.LBB2_104:
	s_andn2_saveexec_b64 s[0:1], s[8:9]
; %bb.105:
	s_movk_i32 s8, 0x7f
	v_or_b32_sdwa v17, v29, s8 dst_sel:DWORD dst_unused:UNUSED_PAD src0_sel:BYTE_3 src1_sel:DWORD
	v_cmp_eq_u64_e32 vcc, 0, v[4:5]
	v_cndmask_b32_e32 v16, v17, v16, vcc
; %bb.106:
	s_or_b64 exec, exec, s[0:1]
	v_mul_f32_e32 v4, v9, v28
	v_max_f32_e32 v4, 0xc3e00000, v4
	v_min_f32_e32 v29, 0x43e00000, v4
	v_mov_b32_e32 v5, 0
	s_movk_i32 s0, 0x80
	v_and_b32_sdwa v28, v29, s0 dst_sel:DWORD dst_unused:UNUSED_PAD src0_sel:BYTE_3 src1_sel:DWORD
	v_and_b32_e32 v30, 0x7f800000, v29
	v_mov_b32_e32 v31, v5
	s_mov_b64 s[0:1], 0x7f800000
	v_and_b32_e32 v4, 0x7fffff, v29
	v_or_b32_e32 v17, 0x7e, v28
	v_cmp_ne_u64_e32 vcc, s[0:1], v[30:31]
	s_and_saveexec_b64 s[0:1], vcc
	s_xor_b64 s[8:9], exec, s[0:1]
	s_cbranch_execz .LBB2_120
; %bb.107:
	v_and_b32_e32 v30, 0x7fffffff, v29
	v_mov_b32_e32 v31, v5
	s_mov_b64 s[0:1], 0x43e00001
	v_cmp_gt_u64_e32 vcc, s[0:1], v[30:31]
	s_and_saveexec_b64 s[0:1], vcc
	s_xor_b64 s[14:15], exec, s[0:1]
	s_cbranch_execz .LBB2_119
; %bb.108:
	v_cmp_ne_u32_e32 vcc, 0, v29
	v_mov_b32_e32 v17, 0
	s_and_saveexec_b64 s[16:17], vcc
	s_cbranch_execz .LBB2_118
; %bb.109:
	v_bfe_u32 v17, v29, 23, 8
	s_movk_i32 s0, 0x7a
	v_sub_u32_e32 v30, 0x79, v17
	v_cmp_gt_u32_e32 vcc, s0, v17
	v_add_u32_e32 v29, 0xffffff81, v17
	v_cndmask_b32_e32 v30, 0, v30, vcc
	v_mov_b32_e32 v32, 0xffffff82
	v_cmp_eq_u32_e32 vcc, 0, v17
	v_cndmask_b32_e32 v17, v29, v32, vcc
	v_mov_b32_e32 v29, 0x78
	v_cndmask_b32_e32 v29, v30, v29, vcc
	v_or_b32_e32 v31, 0x800000, v4
	v_add_u32_e32 v30, 20, v29
	v_cndmask_b32_e32 v4, v31, v4, vcc
	v_lshlrev_b64 v[30:31], v30, -1
	v_not_b32_e32 v30, v30
	v_and_b32_e32 v32, v4, v30
	v_add_u32_e32 v30, 19, v29
	v_lshrrev_b64 v[4:5], v29, v[4:5]
	v_not_b32_e32 v31, v31
	v_lshlrev_b64 v[34:35], v30, 1
	v_lshrrev_b32_e32 v30, 23, v4
	v_and_b32_e32 v33, 0, v31
	v_add3_u32 v30, v29, v17, v30
	v_bfe_u32 v29, v4, 20, 1
	v_add_u32_e32 v29, -1, v29
	v_cmp_eq_u64_e32 vcc, v[32:33], v[34:35]
	v_cndmask_b32_e32 v29, 0, v29, vcc
	v_add_u32_e32 v29, v29, v4
	v_and_b32_e32 v29, 0xfffff, v29
	v_add_co_u32_e32 v4, vcc, v29, v4
	v_add_u32_e32 v17, 6, v30
	v_addc_co_u32_e32 v5, vcc, 0, v5, vcc
	v_cmp_ne_u32_e32 vcc, 0, v17
                                        ; implicit-def: $vgpr29
	s_and_saveexec_b64 s[0:1], vcc
	s_xor_b64 s[0:1], exec, s[0:1]
; %bb.110:
	s_mov_b64 s[18:19], 0xffffff
	v_add_u32_e32 v29, 7, v30
	v_cmp_lt_u64_e32 vcc, s[18:19], v[4:5]
	v_cndmask_b32_e32 v29, v17, v29, vcc
	v_cndmask_b32_e64 v17, 0, 1, vcc
	v_lshrrev_b64 v[4:5], v17, v[4:5]
; %bb.111:
	s_andn2_saveexec_b64 s[0:1], s[0:1]
; %bb.112:
	v_bfe_u32 v29, v4, 23, 1
; %bb.113:
	s_or_b64 exec, exec, s[0:1]
	v_lshrrev_b64 v[4:5], 20, v[4:5]
	v_cmp_gt_i32_e32 vcc, 16, v29
	v_cndmask_b32_e32 v5, 0, v5, vcc
	v_cndmask_b32_e32 v4, 7, v4, vcc
	v_cmp_ne_u32_e32 vcc, 0, v29
	v_cmp_ne_u64_e64 s[0:1], 0, v[4:5]
	s_or_b64 s[0:1], vcc, s[0:1]
                                        ; implicit-def: $vgpr17
	s_and_saveexec_b64 s[18:19], s[0:1]
	s_xor_b64 s[0:1], exec, s[18:19]
; %bb.114:
	v_min_i32_e32 v5, 15, v29
	v_lshl_or_b32 v5, v5, 3, v28
	v_and_or_b32 v17, v4, 7, v5
                                        ; implicit-def: $vgpr28
; %bb.115:
	s_andn2_saveexec_b64 s[0:1], s[0:1]
; %bb.116:
	v_mov_b32_e32 v17, v28
; %bb.117:
	s_or_b64 exec, exec, s[0:1]
.LBB2_118:
	s_or_b64 exec, exec, s[16:17]
.LBB2_119:
	s_andn2_saveexec_b64 s[0:1], s[14:15]
	s_or_b64 exec, exec, s[0:1]
                                        ; implicit-def: $vgpr29
                                        ; implicit-def: $vgpr4_vgpr5
.LBB2_120:
	s_andn2_saveexec_b64 s[0:1], s[8:9]
; %bb.121:
	s_movk_i32 s8, 0x7f
	v_or_b32_sdwa v28, v29, s8 dst_sel:DWORD dst_unused:UNUSED_PAD src0_sel:BYTE_3 src1_sel:DWORD
	v_cmp_eq_u64_e32 vcc, 0, v[4:5]
	v_cndmask_b32_e32 v17, v28, v17, vcc
; %bb.122:
	s_or_b64 exec, exec, s[0:1]
	v_mul_f32_e32 v4, v9, v24
	v_max_f32_e32 v4, 0xc3e00000, v4
	v_min_f32_e32 v29, 0x43e00000, v4
	v_mov_b32_e32 v5, 0
	s_movk_i32 s0, 0x80
	v_and_b32_sdwa v28, v29, s0 dst_sel:DWORD dst_unused:UNUSED_PAD src0_sel:BYTE_3 src1_sel:DWORD
	v_and_b32_e32 v30, 0x7f800000, v29
	v_mov_b32_e32 v31, v5
	s_mov_b64 s[0:1], 0x7f800000
	v_and_b32_e32 v4, 0x7fffff, v29
	v_or_b32_e32 v24, 0x7e, v28
	v_cmp_ne_u64_e32 vcc, s[0:1], v[30:31]
	s_and_saveexec_b64 s[0:1], vcc
	s_xor_b64 s[8:9], exec, s[0:1]
	s_cbranch_execz .LBB2_136
; %bb.123:
	v_and_b32_e32 v30, 0x7fffffff, v29
	v_mov_b32_e32 v31, v5
	s_mov_b64 s[0:1], 0x43e00001
	v_cmp_gt_u64_e32 vcc, s[0:1], v[30:31]
	s_and_saveexec_b64 s[0:1], vcc
	s_xor_b64 s[14:15], exec, s[0:1]
	s_cbranch_execz .LBB2_135
; %bb.124:
	v_cmp_ne_u32_e32 vcc, 0, v29
	v_mov_b32_e32 v24, 0
	s_and_saveexec_b64 s[16:17], vcc
	s_cbranch_execz .LBB2_134
; %bb.125:
	v_bfe_u32 v24, v29, 23, 8
	s_movk_i32 s0, 0x7a
	v_sub_u32_e32 v30, 0x79, v24
	v_cmp_gt_u32_e32 vcc, s0, v24
	v_add_u32_e32 v29, 0xffffff81, v24
	v_cndmask_b32_e32 v30, 0, v30, vcc
	v_mov_b32_e32 v32, 0xffffff82
	v_cmp_eq_u32_e32 vcc, 0, v24
	v_cndmask_b32_e32 v24, v29, v32, vcc
	v_mov_b32_e32 v29, 0x78
	v_cndmask_b32_e32 v29, v30, v29, vcc
	v_or_b32_e32 v31, 0x800000, v4
	v_add_u32_e32 v30, 20, v29
	v_cndmask_b32_e32 v4, v31, v4, vcc
	v_lshlrev_b64 v[30:31], v30, -1
	v_not_b32_e32 v30, v30
	v_and_b32_e32 v32, v4, v30
	v_add_u32_e32 v30, 19, v29
	v_lshrrev_b64 v[4:5], v29, v[4:5]
	v_not_b32_e32 v31, v31
	v_lshlrev_b64 v[34:35], v30, 1
	v_lshrrev_b32_e32 v30, 23, v4
	v_and_b32_e32 v33, 0, v31
	v_add3_u32 v30, v29, v24, v30
	v_bfe_u32 v29, v4, 20, 1
	v_add_u32_e32 v29, -1, v29
	v_cmp_eq_u64_e32 vcc, v[32:33], v[34:35]
	v_cndmask_b32_e32 v29, 0, v29, vcc
	v_add_u32_e32 v29, v29, v4
	v_and_b32_e32 v29, 0xfffff, v29
	v_add_co_u32_e32 v4, vcc, v29, v4
	v_add_u32_e32 v24, 6, v30
	v_addc_co_u32_e32 v5, vcc, 0, v5, vcc
	v_cmp_ne_u32_e32 vcc, 0, v24
                                        ; implicit-def: $vgpr29
	s_and_saveexec_b64 s[0:1], vcc
	s_xor_b64 s[0:1], exec, s[0:1]
; %bb.126:
	s_mov_b64 s[18:19], 0xffffff
	v_add_u32_e32 v29, 7, v30
	v_cmp_lt_u64_e32 vcc, s[18:19], v[4:5]
	v_cndmask_b32_e32 v29, v24, v29, vcc
	v_cndmask_b32_e64 v24, 0, 1, vcc
	v_lshrrev_b64 v[4:5], v24, v[4:5]
; %bb.127:
	s_andn2_saveexec_b64 s[0:1], s[0:1]
; %bb.128:
	v_bfe_u32 v29, v4, 23, 1
; %bb.129:
	s_or_b64 exec, exec, s[0:1]
	v_lshrrev_b64 v[4:5], 20, v[4:5]
	v_cmp_gt_i32_e32 vcc, 16, v29
	v_cndmask_b32_e32 v5, 0, v5, vcc
	v_cndmask_b32_e32 v4, 7, v4, vcc
	v_cmp_ne_u32_e32 vcc, 0, v29
	v_cmp_ne_u64_e64 s[0:1], 0, v[4:5]
	s_or_b64 s[0:1], vcc, s[0:1]
                                        ; implicit-def: $vgpr24
	s_and_saveexec_b64 s[18:19], s[0:1]
	s_xor_b64 s[0:1], exec, s[18:19]
; %bb.130:
	v_min_i32_e32 v5, 15, v29
	v_lshl_or_b32 v5, v5, 3, v28
	v_and_or_b32 v24, v4, 7, v5
                                        ; implicit-def: $vgpr28
; %bb.131:
	s_andn2_saveexec_b64 s[0:1], s[0:1]
; %bb.132:
	v_mov_b32_e32 v24, v28
; %bb.133:
	s_or_b64 exec, exec, s[0:1]
.LBB2_134:
	s_or_b64 exec, exec, s[16:17]
.LBB2_135:
	s_andn2_saveexec_b64 s[0:1], s[14:15]
	s_or_b64 exec, exec, s[0:1]
                                        ; implicit-def: $vgpr29
                                        ; implicit-def: $vgpr4_vgpr5
.LBB2_136:
	s_andn2_saveexec_b64 s[0:1], s[8:9]
; %bb.137:
	s_movk_i32 s8, 0x7f
	v_or_b32_sdwa v28, v29, s8 dst_sel:DWORD dst_unused:UNUSED_PAD src0_sel:BYTE_3 src1_sel:DWORD
	v_cmp_eq_u64_e32 vcc, 0, v[4:5]
	v_cndmask_b32_e32 v24, v28, v24, vcc
; %bb.138:
	s_or_b64 exec, exec, s[0:1]
	v_mul_f32_e32 v4, v9, v26
	v_max_f32_e32 v4, 0xc3e00000, v4
	v_min_f32_e32 v29, 0x43e00000, v4
	v_mov_b32_e32 v5, 0
	s_movk_i32 s0, 0x80
	v_and_b32_sdwa v28, v29, s0 dst_sel:DWORD dst_unused:UNUSED_PAD src0_sel:BYTE_3 src1_sel:DWORD
	v_and_b32_e32 v30, 0x7f800000, v29
	v_mov_b32_e32 v31, v5
	s_mov_b64 s[0:1], 0x7f800000
	v_and_b32_e32 v4, 0x7fffff, v29
	v_or_b32_e32 v26, 0x7e, v28
	v_cmp_ne_u64_e32 vcc, s[0:1], v[30:31]
	s_and_saveexec_b64 s[0:1], vcc
	s_xor_b64 s[8:9], exec, s[0:1]
	s_cbranch_execz .LBB2_152
; %bb.139:
	v_and_b32_e32 v30, 0x7fffffff, v29
	v_mov_b32_e32 v31, v5
	s_mov_b64 s[0:1], 0x43e00001
	v_cmp_gt_u64_e32 vcc, s[0:1], v[30:31]
	s_and_saveexec_b64 s[0:1], vcc
	s_xor_b64 s[14:15], exec, s[0:1]
	s_cbranch_execz .LBB2_151
; %bb.140:
	v_cmp_ne_u32_e32 vcc, 0, v29
	v_mov_b32_e32 v26, 0
	s_and_saveexec_b64 s[16:17], vcc
	s_cbranch_execz .LBB2_150
; %bb.141:
	v_bfe_u32 v26, v29, 23, 8
	s_movk_i32 s0, 0x7a
	v_sub_u32_e32 v30, 0x79, v26
	v_cmp_gt_u32_e32 vcc, s0, v26
	v_add_u32_e32 v29, 0xffffff81, v26
	v_cndmask_b32_e32 v30, 0, v30, vcc
	v_mov_b32_e32 v32, 0xffffff82
	v_cmp_eq_u32_e32 vcc, 0, v26
	v_cndmask_b32_e32 v26, v29, v32, vcc
	v_mov_b32_e32 v29, 0x78
	v_cndmask_b32_e32 v29, v30, v29, vcc
	v_or_b32_e32 v31, 0x800000, v4
	v_add_u32_e32 v30, 20, v29
	v_cndmask_b32_e32 v4, v31, v4, vcc
	v_lshlrev_b64 v[30:31], v30, -1
	v_not_b32_e32 v30, v30
	v_and_b32_e32 v32, v4, v30
	v_add_u32_e32 v30, 19, v29
	v_lshrrev_b64 v[4:5], v29, v[4:5]
	v_not_b32_e32 v31, v31
	v_lshlrev_b64 v[34:35], v30, 1
	v_lshrrev_b32_e32 v30, 23, v4
	v_and_b32_e32 v33, 0, v31
	v_add3_u32 v30, v29, v26, v30
	v_bfe_u32 v29, v4, 20, 1
	v_add_u32_e32 v29, -1, v29
	v_cmp_eq_u64_e32 vcc, v[32:33], v[34:35]
	v_cndmask_b32_e32 v29, 0, v29, vcc
	v_add_u32_e32 v29, v29, v4
	v_and_b32_e32 v29, 0xfffff, v29
	v_add_co_u32_e32 v4, vcc, v29, v4
	v_add_u32_e32 v26, 6, v30
	v_addc_co_u32_e32 v5, vcc, 0, v5, vcc
	v_cmp_ne_u32_e32 vcc, 0, v26
                                        ; implicit-def: $vgpr29
	s_and_saveexec_b64 s[0:1], vcc
	s_xor_b64 s[0:1], exec, s[0:1]
; %bb.142:
	s_mov_b64 s[18:19], 0xffffff
	v_add_u32_e32 v29, 7, v30
	v_cmp_lt_u64_e32 vcc, s[18:19], v[4:5]
	v_cndmask_b32_e32 v29, v26, v29, vcc
	v_cndmask_b32_e64 v26, 0, 1, vcc
	v_lshrrev_b64 v[4:5], v26, v[4:5]
; %bb.143:
	s_andn2_saveexec_b64 s[0:1], s[0:1]
; %bb.144:
	v_bfe_u32 v29, v4, 23, 1
; %bb.145:
	s_or_b64 exec, exec, s[0:1]
	v_lshrrev_b64 v[4:5], 20, v[4:5]
	v_cmp_gt_i32_e32 vcc, 16, v29
	v_cndmask_b32_e32 v5, 0, v5, vcc
	v_cndmask_b32_e32 v4, 7, v4, vcc
	v_cmp_ne_u32_e32 vcc, 0, v29
	v_cmp_ne_u64_e64 s[0:1], 0, v[4:5]
	s_or_b64 s[0:1], vcc, s[0:1]
                                        ; implicit-def: $vgpr26
	s_and_saveexec_b64 s[18:19], s[0:1]
	s_xor_b64 s[0:1], exec, s[18:19]
; %bb.146:
	v_min_i32_e32 v5, 15, v29
	v_lshl_or_b32 v5, v5, 3, v28
	v_and_or_b32 v26, v4, 7, v5
                                        ; implicit-def: $vgpr28
; %bb.147:
	s_andn2_saveexec_b64 s[0:1], s[0:1]
; %bb.148:
	v_mov_b32_e32 v26, v28
; %bb.149:
	s_or_b64 exec, exec, s[0:1]
.LBB2_150:
	s_or_b64 exec, exec, s[16:17]
.LBB2_151:
	s_andn2_saveexec_b64 s[0:1], s[14:15]
	s_or_b64 exec, exec, s[0:1]
                                        ; implicit-def: $vgpr29
                                        ; implicit-def: $vgpr4_vgpr5
.LBB2_152:
	s_andn2_saveexec_b64 s[0:1], s[8:9]
; %bb.153:
	s_movk_i32 s8, 0x7f
	v_or_b32_sdwa v28, v29, s8 dst_sel:DWORD dst_unused:UNUSED_PAD src0_sel:BYTE_3 src1_sel:DWORD
	v_cmp_eq_u64_e32 vcc, 0, v[4:5]
	v_cndmask_b32_e32 v26, v28, v26, vcc
; %bb.154:
	s_or_b64 exec, exec, s[0:1]
	v_mul_f32_e32 v4, v9, v27
	v_max_f32_e32 v4, 0xc3e00000, v4
	v_min_f32_e32 v29, 0x43e00000, v4
	v_mov_b32_e32 v5, 0
	s_movk_i32 s0, 0x80
	v_and_b32_sdwa v28, v29, s0 dst_sel:DWORD dst_unused:UNUSED_PAD src0_sel:BYTE_3 src1_sel:DWORD
	v_and_b32_e32 v30, 0x7f800000, v29
	v_mov_b32_e32 v31, v5
	s_mov_b64 s[0:1], 0x7f800000
	v_and_b32_e32 v4, 0x7fffff, v29
	v_or_b32_e32 v27, 0x7e, v28
	v_cmp_ne_u64_e32 vcc, s[0:1], v[30:31]
	s_and_saveexec_b64 s[0:1], vcc
	s_xor_b64 s[8:9], exec, s[0:1]
	s_cbranch_execz .LBB2_168
; %bb.155:
	v_and_b32_e32 v30, 0x7fffffff, v29
	v_mov_b32_e32 v31, v5
	s_mov_b64 s[0:1], 0x43e00001
	v_cmp_gt_u64_e32 vcc, s[0:1], v[30:31]
	s_and_saveexec_b64 s[0:1], vcc
	s_xor_b64 s[14:15], exec, s[0:1]
	s_cbranch_execz .LBB2_167
; %bb.156:
	v_cmp_ne_u32_e32 vcc, 0, v29
	v_mov_b32_e32 v27, 0
	s_and_saveexec_b64 s[16:17], vcc
	s_cbranch_execz .LBB2_166
; %bb.157:
	v_bfe_u32 v27, v29, 23, 8
	s_movk_i32 s0, 0x7a
	v_sub_u32_e32 v30, 0x79, v27
	v_cmp_gt_u32_e32 vcc, s0, v27
	v_add_u32_e32 v29, 0xffffff81, v27
	v_cndmask_b32_e32 v30, 0, v30, vcc
	v_mov_b32_e32 v32, 0xffffff82
	v_cmp_eq_u32_e32 vcc, 0, v27
	v_cndmask_b32_e32 v27, v29, v32, vcc
	v_mov_b32_e32 v29, 0x78
	v_cndmask_b32_e32 v29, v30, v29, vcc
	v_or_b32_e32 v31, 0x800000, v4
	v_add_u32_e32 v30, 20, v29
	v_cndmask_b32_e32 v4, v31, v4, vcc
	v_lshlrev_b64 v[30:31], v30, -1
	v_not_b32_e32 v30, v30
	v_and_b32_e32 v32, v4, v30
	v_add_u32_e32 v30, 19, v29
	v_lshrrev_b64 v[4:5], v29, v[4:5]
	v_not_b32_e32 v31, v31
	v_lshlrev_b64 v[34:35], v30, 1
	v_lshrrev_b32_e32 v30, 23, v4
	v_and_b32_e32 v33, 0, v31
	v_add3_u32 v30, v29, v27, v30
	v_bfe_u32 v29, v4, 20, 1
	v_add_u32_e32 v29, -1, v29
	v_cmp_eq_u64_e32 vcc, v[32:33], v[34:35]
	v_cndmask_b32_e32 v29, 0, v29, vcc
	v_add_u32_e32 v29, v29, v4
	v_and_b32_e32 v29, 0xfffff, v29
	v_add_co_u32_e32 v4, vcc, v29, v4
	v_add_u32_e32 v27, 6, v30
	v_addc_co_u32_e32 v5, vcc, 0, v5, vcc
	v_cmp_ne_u32_e32 vcc, 0, v27
                                        ; implicit-def: $vgpr29
	s_and_saveexec_b64 s[0:1], vcc
	s_xor_b64 s[0:1], exec, s[0:1]
; %bb.158:
	s_mov_b64 s[18:19], 0xffffff
	v_add_u32_e32 v29, 7, v30
	v_cmp_lt_u64_e32 vcc, s[18:19], v[4:5]
	v_cndmask_b32_e32 v29, v27, v29, vcc
	v_cndmask_b32_e64 v27, 0, 1, vcc
	v_lshrrev_b64 v[4:5], v27, v[4:5]
; %bb.159:
	s_andn2_saveexec_b64 s[0:1], s[0:1]
; %bb.160:
	v_bfe_u32 v29, v4, 23, 1
; %bb.161:
	s_or_b64 exec, exec, s[0:1]
	v_lshrrev_b64 v[4:5], 20, v[4:5]
	v_cmp_gt_i32_e32 vcc, 16, v29
	v_cndmask_b32_e32 v5, 0, v5, vcc
	v_cndmask_b32_e32 v4, 7, v4, vcc
	v_cmp_ne_u32_e32 vcc, 0, v29
	v_cmp_ne_u64_e64 s[0:1], 0, v[4:5]
	s_or_b64 s[0:1], vcc, s[0:1]
                                        ; implicit-def: $vgpr27
	s_and_saveexec_b64 s[18:19], s[0:1]
	s_xor_b64 s[0:1], exec, s[18:19]
; %bb.162:
	v_min_i32_e32 v5, 15, v29
	v_lshl_or_b32 v5, v5, 3, v28
	v_and_or_b32 v27, v4, 7, v5
                                        ; implicit-def: $vgpr28
; %bb.163:
	s_andn2_saveexec_b64 s[0:1], s[0:1]
; %bb.164:
	v_mov_b32_e32 v27, v28
; %bb.165:
	s_or_b64 exec, exec, s[0:1]
.LBB2_166:
	s_or_b64 exec, exec, s[16:17]
.LBB2_167:
	s_andn2_saveexec_b64 s[0:1], s[14:15]
	s_or_b64 exec, exec, s[0:1]
                                        ; implicit-def: $vgpr29
                                        ; implicit-def: $vgpr4_vgpr5
.LBB2_168:
	s_andn2_saveexec_b64 s[0:1], s[8:9]
; %bb.169:
	s_movk_i32 s8, 0x7f
	v_or_b32_sdwa v28, v29, s8 dst_sel:DWORD dst_unused:UNUSED_PAD src0_sel:BYTE_3 src1_sel:DWORD
	v_cmp_eq_u64_e32 vcc, 0, v[4:5]
	v_cndmask_b32_e32 v27, v28, v27, vcc
; %bb.170:
	s_or_b64 exec, exec, s[0:1]
	v_mul_f32_e32 v4, v9, v25
	v_max_f32_e32 v4, 0xc3e00000, v4
	v_min_f32_e32 v29, 0x43e00000, v4
	v_mov_b32_e32 v5, 0
	s_movk_i32 s0, 0x80
	v_and_b32_sdwa v28, v29, s0 dst_sel:DWORD dst_unused:UNUSED_PAD src0_sel:BYTE_3 src1_sel:DWORD
	v_and_b32_e32 v30, 0x7f800000, v29
	v_mov_b32_e32 v31, v5
	s_mov_b64 s[0:1], 0x7f800000
	v_and_b32_e32 v4, 0x7fffff, v29
	v_or_b32_e32 v25, 0x7e, v28
	v_cmp_ne_u64_e32 vcc, s[0:1], v[30:31]
	s_and_saveexec_b64 s[0:1], vcc
	s_xor_b64 s[8:9], exec, s[0:1]
	s_cbranch_execz .LBB2_184
; %bb.171:
	v_and_b32_e32 v30, 0x7fffffff, v29
	v_mov_b32_e32 v31, v5
	s_mov_b64 s[0:1], 0x43e00001
	v_cmp_gt_u64_e32 vcc, s[0:1], v[30:31]
	s_and_saveexec_b64 s[0:1], vcc
	s_xor_b64 s[14:15], exec, s[0:1]
	s_cbranch_execz .LBB2_183
; %bb.172:
	v_cmp_ne_u32_e32 vcc, 0, v29
	v_mov_b32_e32 v25, 0
	s_and_saveexec_b64 s[16:17], vcc
	s_cbranch_execz .LBB2_182
; %bb.173:
	v_bfe_u32 v25, v29, 23, 8
	s_movk_i32 s0, 0x7a
	v_sub_u32_e32 v30, 0x79, v25
	v_cmp_gt_u32_e32 vcc, s0, v25
	v_add_u32_e32 v29, 0xffffff81, v25
	v_cndmask_b32_e32 v30, 0, v30, vcc
	v_mov_b32_e32 v32, 0xffffff82
	v_cmp_eq_u32_e32 vcc, 0, v25
	v_cndmask_b32_e32 v25, v29, v32, vcc
	v_mov_b32_e32 v29, 0x78
	v_cndmask_b32_e32 v29, v30, v29, vcc
	v_or_b32_e32 v31, 0x800000, v4
	v_add_u32_e32 v30, 20, v29
	v_cndmask_b32_e32 v4, v31, v4, vcc
	v_lshlrev_b64 v[30:31], v30, -1
	v_not_b32_e32 v30, v30
	v_and_b32_e32 v32, v4, v30
	v_add_u32_e32 v30, 19, v29
	v_lshrrev_b64 v[4:5], v29, v[4:5]
	v_not_b32_e32 v31, v31
	v_lshlrev_b64 v[34:35], v30, 1
	v_lshrrev_b32_e32 v30, 23, v4
	v_and_b32_e32 v33, 0, v31
	v_add3_u32 v30, v29, v25, v30
	v_bfe_u32 v29, v4, 20, 1
	v_add_u32_e32 v29, -1, v29
	v_cmp_eq_u64_e32 vcc, v[32:33], v[34:35]
	v_cndmask_b32_e32 v29, 0, v29, vcc
	v_add_u32_e32 v29, v29, v4
	v_and_b32_e32 v29, 0xfffff, v29
	v_add_co_u32_e32 v4, vcc, v29, v4
	v_add_u32_e32 v25, 6, v30
	v_addc_co_u32_e32 v5, vcc, 0, v5, vcc
	v_cmp_ne_u32_e32 vcc, 0, v25
                                        ; implicit-def: $vgpr29
	s_and_saveexec_b64 s[0:1], vcc
	s_xor_b64 s[0:1], exec, s[0:1]
; %bb.174:
	s_mov_b64 s[18:19], 0xffffff
	v_add_u32_e32 v29, 7, v30
	v_cmp_lt_u64_e32 vcc, s[18:19], v[4:5]
	v_cndmask_b32_e32 v29, v25, v29, vcc
	v_cndmask_b32_e64 v25, 0, 1, vcc
	v_lshrrev_b64 v[4:5], v25, v[4:5]
; %bb.175:
	s_andn2_saveexec_b64 s[0:1], s[0:1]
; %bb.176:
	v_bfe_u32 v29, v4, 23, 1
; %bb.177:
	s_or_b64 exec, exec, s[0:1]
	v_lshrrev_b64 v[4:5], 20, v[4:5]
	v_cmp_gt_i32_e32 vcc, 16, v29
	v_cndmask_b32_e32 v5, 0, v5, vcc
	v_cndmask_b32_e32 v4, 7, v4, vcc
	v_cmp_ne_u32_e32 vcc, 0, v29
	v_cmp_ne_u64_e64 s[0:1], 0, v[4:5]
	s_or_b64 s[0:1], vcc, s[0:1]
                                        ; implicit-def: $vgpr25
	s_and_saveexec_b64 s[18:19], s[0:1]
	s_xor_b64 s[0:1], exec, s[18:19]
; %bb.178:
	v_min_i32_e32 v5, 15, v29
	v_lshl_or_b32 v5, v5, 3, v28
	v_and_or_b32 v25, v4, 7, v5
                                        ; implicit-def: $vgpr28
; %bb.179:
	s_andn2_saveexec_b64 s[0:1], s[0:1]
; %bb.180:
	v_mov_b32_e32 v25, v28
; %bb.181:
	s_or_b64 exec, exec, s[0:1]
.LBB2_182:
	s_or_b64 exec, exec, s[16:17]
.LBB2_183:
	s_andn2_saveexec_b64 s[0:1], s[14:15]
	s_or_b64 exec, exec, s[0:1]
                                        ; implicit-def: $vgpr29
                                        ; implicit-def: $vgpr4_vgpr5
.LBB2_184:
	s_andn2_saveexec_b64 s[0:1], s[8:9]
; %bb.185:
	s_movk_i32 s8, 0x7f
	v_or_b32_sdwa v28, v29, s8 dst_sel:DWORD dst_unused:UNUSED_PAD src0_sel:BYTE_3 src1_sel:DWORD
	v_cmp_eq_u64_e32 vcc, 0, v[4:5]
	v_cndmask_b32_e32 v25, v28, v25, vcc
; %bb.186:
	s_or_b64 exec, exec, s[0:1]
	v_mul_f32_e32 v4, v9, v23
	v_max_f32_e32 v4, 0xc3e00000, v4
	v_min_f32_e32 v29, 0x43e00000, v4
	v_mov_b32_e32 v5, 0
	s_movk_i32 s0, 0x80
	v_and_b32_sdwa v28, v29, s0 dst_sel:DWORD dst_unused:UNUSED_PAD src0_sel:BYTE_3 src1_sel:DWORD
	v_and_b32_e32 v30, 0x7f800000, v29
	v_mov_b32_e32 v31, v5
	s_mov_b64 s[0:1], 0x7f800000
	v_and_b32_e32 v4, 0x7fffff, v29
	v_or_b32_e32 v23, 0x7e, v28
	v_cmp_ne_u64_e32 vcc, s[0:1], v[30:31]
	s_and_saveexec_b64 s[0:1], vcc
	s_xor_b64 s[8:9], exec, s[0:1]
	s_cbranch_execz .LBB2_200
; %bb.187:
	v_and_b32_e32 v30, 0x7fffffff, v29
	v_mov_b32_e32 v31, v5
	s_mov_b64 s[0:1], 0x43e00001
	v_cmp_gt_u64_e32 vcc, s[0:1], v[30:31]
	s_and_saveexec_b64 s[0:1], vcc
	s_xor_b64 s[14:15], exec, s[0:1]
	s_cbranch_execz .LBB2_199
; %bb.188:
	v_cmp_ne_u32_e32 vcc, 0, v29
	v_mov_b32_e32 v23, 0
	s_and_saveexec_b64 s[16:17], vcc
	s_cbranch_execz .LBB2_198
; %bb.189:
	v_bfe_u32 v23, v29, 23, 8
	s_movk_i32 s0, 0x7a
	v_sub_u32_e32 v30, 0x79, v23
	v_cmp_gt_u32_e32 vcc, s0, v23
	v_add_u32_e32 v29, 0xffffff81, v23
	v_cndmask_b32_e32 v30, 0, v30, vcc
	v_mov_b32_e32 v32, 0xffffff82
	v_cmp_eq_u32_e32 vcc, 0, v23
	v_cndmask_b32_e32 v23, v29, v32, vcc
	v_mov_b32_e32 v29, 0x78
	v_cndmask_b32_e32 v29, v30, v29, vcc
	v_or_b32_e32 v31, 0x800000, v4
	v_add_u32_e32 v30, 20, v29
	v_cndmask_b32_e32 v4, v31, v4, vcc
	v_lshlrev_b64 v[30:31], v30, -1
	v_not_b32_e32 v30, v30
	v_and_b32_e32 v32, v4, v30
	v_add_u32_e32 v30, 19, v29
	v_lshrrev_b64 v[4:5], v29, v[4:5]
	v_not_b32_e32 v31, v31
	v_lshlrev_b64 v[34:35], v30, 1
	v_lshrrev_b32_e32 v30, 23, v4
	v_and_b32_e32 v33, 0, v31
	v_add3_u32 v30, v29, v23, v30
	v_bfe_u32 v29, v4, 20, 1
	v_add_u32_e32 v29, -1, v29
	v_cmp_eq_u64_e32 vcc, v[32:33], v[34:35]
	v_cndmask_b32_e32 v29, 0, v29, vcc
	v_add_u32_e32 v29, v29, v4
	v_and_b32_e32 v29, 0xfffff, v29
	v_add_co_u32_e32 v4, vcc, v29, v4
	v_add_u32_e32 v23, 6, v30
	v_addc_co_u32_e32 v5, vcc, 0, v5, vcc
	v_cmp_ne_u32_e32 vcc, 0, v23
                                        ; implicit-def: $vgpr29
	s_and_saveexec_b64 s[0:1], vcc
	s_xor_b64 s[0:1], exec, s[0:1]
; %bb.190:
	s_mov_b64 s[18:19], 0xffffff
	v_add_u32_e32 v29, 7, v30
	v_cmp_lt_u64_e32 vcc, s[18:19], v[4:5]
	v_cndmask_b32_e32 v29, v23, v29, vcc
	v_cndmask_b32_e64 v23, 0, 1, vcc
	v_lshrrev_b64 v[4:5], v23, v[4:5]
; %bb.191:
	s_andn2_saveexec_b64 s[0:1], s[0:1]
; %bb.192:
	v_bfe_u32 v29, v4, 23, 1
; %bb.193:
	s_or_b64 exec, exec, s[0:1]
	v_lshrrev_b64 v[4:5], 20, v[4:5]
	v_cmp_gt_i32_e32 vcc, 16, v29
	v_cndmask_b32_e32 v5, 0, v5, vcc
	v_cndmask_b32_e32 v4, 7, v4, vcc
	v_cmp_ne_u32_e32 vcc, 0, v29
	v_cmp_ne_u64_e64 s[0:1], 0, v[4:5]
	s_or_b64 s[0:1], vcc, s[0:1]
                                        ; implicit-def: $vgpr23
	s_and_saveexec_b64 s[18:19], s[0:1]
	s_xor_b64 s[0:1], exec, s[18:19]
; %bb.194:
	v_min_i32_e32 v5, 15, v29
	v_lshl_or_b32 v5, v5, 3, v28
	v_and_or_b32 v23, v4, 7, v5
                                        ; implicit-def: $vgpr28
; %bb.195:
	s_andn2_saveexec_b64 s[0:1], s[0:1]
; %bb.196:
	v_mov_b32_e32 v23, v28
; %bb.197:
	s_or_b64 exec, exec, s[0:1]
.LBB2_198:
	s_or_b64 exec, exec, s[16:17]
.LBB2_199:
	s_andn2_saveexec_b64 s[0:1], s[14:15]
	s_or_b64 exec, exec, s[0:1]
                                        ; implicit-def: $vgpr29
                                        ; implicit-def: $vgpr4_vgpr5
.LBB2_200:
	s_andn2_saveexec_b64 s[0:1], s[8:9]
; %bb.201:
	s_movk_i32 s8, 0x7f
	v_or_b32_sdwa v28, v29, s8 dst_sel:DWORD dst_unused:UNUSED_PAD src0_sel:BYTE_3 src1_sel:DWORD
	v_cmp_eq_u64_e32 vcc, 0, v[4:5]
	v_cndmask_b32_e32 v23, v28, v23, vcc
; %bb.202:
	s_or_b64 exec, exec, s[0:1]
	v_mul_f32_e32 v4, v9, v22
	v_max_f32_e32 v4, 0xc3e00000, v4
	v_min_f32_e32 v29, 0x43e00000, v4
	v_mov_b32_e32 v5, 0
	s_movk_i32 s0, 0x80
	v_and_b32_sdwa v28, v29, s0 dst_sel:DWORD dst_unused:UNUSED_PAD src0_sel:BYTE_3 src1_sel:DWORD
	v_and_b32_e32 v30, 0x7f800000, v29
	v_mov_b32_e32 v31, v5
	s_mov_b64 s[0:1], 0x7f800000
	v_and_b32_e32 v4, 0x7fffff, v29
	v_or_b32_e32 v22, 0x7e, v28
	v_cmp_ne_u64_e32 vcc, s[0:1], v[30:31]
	s_and_saveexec_b64 s[0:1], vcc
	s_xor_b64 s[8:9], exec, s[0:1]
	s_cbranch_execz .LBB2_216
; %bb.203:
	v_and_b32_e32 v30, 0x7fffffff, v29
	v_mov_b32_e32 v31, v5
	s_mov_b64 s[0:1], 0x43e00001
	v_cmp_gt_u64_e32 vcc, s[0:1], v[30:31]
	s_and_saveexec_b64 s[0:1], vcc
	s_xor_b64 s[14:15], exec, s[0:1]
	s_cbranch_execz .LBB2_215
; %bb.204:
	v_cmp_ne_u32_e32 vcc, 0, v29
	v_mov_b32_e32 v22, 0
	s_and_saveexec_b64 s[16:17], vcc
	s_cbranch_execz .LBB2_214
; %bb.205:
	v_bfe_u32 v22, v29, 23, 8
	s_movk_i32 s0, 0x7a
	v_sub_u32_e32 v30, 0x79, v22
	v_cmp_gt_u32_e32 vcc, s0, v22
	v_add_u32_e32 v29, 0xffffff81, v22
	v_cndmask_b32_e32 v30, 0, v30, vcc
	v_mov_b32_e32 v32, 0xffffff82
	v_cmp_eq_u32_e32 vcc, 0, v22
	v_cndmask_b32_e32 v22, v29, v32, vcc
	v_mov_b32_e32 v29, 0x78
	v_cndmask_b32_e32 v29, v30, v29, vcc
	v_or_b32_e32 v31, 0x800000, v4
	v_add_u32_e32 v30, 20, v29
	v_cndmask_b32_e32 v4, v31, v4, vcc
	v_lshlrev_b64 v[30:31], v30, -1
	v_not_b32_e32 v30, v30
	v_and_b32_e32 v32, v4, v30
	v_add_u32_e32 v30, 19, v29
	v_lshrrev_b64 v[4:5], v29, v[4:5]
	v_not_b32_e32 v31, v31
	v_lshlrev_b64 v[34:35], v30, 1
	v_lshrrev_b32_e32 v30, 23, v4
	v_and_b32_e32 v33, 0, v31
	v_add3_u32 v30, v29, v22, v30
	v_bfe_u32 v29, v4, 20, 1
	v_add_u32_e32 v29, -1, v29
	v_cmp_eq_u64_e32 vcc, v[32:33], v[34:35]
	v_cndmask_b32_e32 v29, 0, v29, vcc
	v_add_u32_e32 v29, v29, v4
	v_and_b32_e32 v29, 0xfffff, v29
	v_add_co_u32_e32 v4, vcc, v29, v4
	v_add_u32_e32 v22, 6, v30
	v_addc_co_u32_e32 v5, vcc, 0, v5, vcc
	v_cmp_ne_u32_e32 vcc, 0, v22
                                        ; implicit-def: $vgpr29
	s_and_saveexec_b64 s[0:1], vcc
	s_xor_b64 s[0:1], exec, s[0:1]
; %bb.206:
	s_mov_b64 s[18:19], 0xffffff
	v_add_u32_e32 v29, 7, v30
	v_cmp_lt_u64_e32 vcc, s[18:19], v[4:5]
	v_cndmask_b32_e32 v29, v22, v29, vcc
	v_cndmask_b32_e64 v22, 0, 1, vcc
	v_lshrrev_b64 v[4:5], v22, v[4:5]
; %bb.207:
	s_andn2_saveexec_b64 s[0:1], s[0:1]
; %bb.208:
	v_bfe_u32 v29, v4, 23, 1
; %bb.209:
	s_or_b64 exec, exec, s[0:1]
	v_lshrrev_b64 v[4:5], 20, v[4:5]
	v_cmp_gt_i32_e32 vcc, 16, v29
	v_cndmask_b32_e32 v5, 0, v5, vcc
	v_cndmask_b32_e32 v4, 7, v4, vcc
	v_cmp_ne_u32_e32 vcc, 0, v29
	v_cmp_ne_u64_e64 s[0:1], 0, v[4:5]
	s_or_b64 s[0:1], vcc, s[0:1]
                                        ; implicit-def: $vgpr22
	s_and_saveexec_b64 s[18:19], s[0:1]
	s_xor_b64 s[0:1], exec, s[18:19]
; %bb.210:
	v_min_i32_e32 v5, 15, v29
	v_lshl_or_b32 v5, v5, 3, v28
	v_and_or_b32 v22, v4, 7, v5
                                        ; implicit-def: $vgpr28
; %bb.211:
	s_andn2_saveexec_b64 s[0:1], s[0:1]
; %bb.212:
	v_mov_b32_e32 v22, v28
; %bb.213:
	s_or_b64 exec, exec, s[0:1]
.LBB2_214:
	s_or_b64 exec, exec, s[16:17]
.LBB2_215:
	s_andn2_saveexec_b64 s[0:1], s[14:15]
	s_or_b64 exec, exec, s[0:1]
                                        ; implicit-def: $vgpr29
                                        ; implicit-def: $vgpr4_vgpr5
.LBB2_216:
	s_andn2_saveexec_b64 s[0:1], s[8:9]
; %bb.217:
	s_movk_i32 s8, 0x7f
	v_or_b32_sdwa v28, v29, s8 dst_sel:DWORD dst_unused:UNUSED_PAD src0_sel:BYTE_3 src1_sel:DWORD
	v_cmp_eq_u64_e32 vcc, 0, v[4:5]
	v_cndmask_b32_e32 v22, v28, v22, vcc
; %bb.218:
	s_or_b64 exec, exec, s[0:1]
	v_mul_f32_e32 v4, v9, v15
	v_max_f32_e32 v4, 0xc3e00000, v4
	v_min_f32_e32 v29, 0x43e00000, v4
	v_mov_b32_e32 v5, 0
	s_movk_i32 s0, 0x80
	v_and_b32_sdwa v28, v29, s0 dst_sel:DWORD dst_unused:UNUSED_PAD src0_sel:BYTE_3 src1_sel:DWORD
	v_and_b32_e32 v30, 0x7f800000, v29
	v_mov_b32_e32 v31, v5
	s_mov_b64 s[0:1], 0x7f800000
	v_and_b32_e32 v4, 0x7fffff, v29
	v_or_b32_e32 v15, 0x7e, v28
	v_cmp_ne_u64_e32 vcc, s[0:1], v[30:31]
	s_and_saveexec_b64 s[0:1], vcc
	s_xor_b64 s[8:9], exec, s[0:1]
	s_cbranch_execz .LBB2_232
; %bb.219:
	v_and_b32_e32 v30, 0x7fffffff, v29
	v_mov_b32_e32 v31, v5
	s_mov_b64 s[0:1], 0x43e00001
	v_cmp_gt_u64_e32 vcc, s[0:1], v[30:31]
	s_and_saveexec_b64 s[0:1], vcc
	s_xor_b64 s[14:15], exec, s[0:1]
	s_cbranch_execz .LBB2_231
; %bb.220:
	v_cmp_ne_u32_e32 vcc, 0, v29
	v_mov_b32_e32 v15, 0
	s_and_saveexec_b64 s[16:17], vcc
	s_cbranch_execz .LBB2_230
; %bb.221:
	v_bfe_u32 v15, v29, 23, 8
	s_movk_i32 s0, 0x7a
	v_sub_u32_e32 v30, 0x79, v15
	v_cmp_gt_u32_e32 vcc, s0, v15
	v_add_u32_e32 v29, 0xffffff81, v15
	v_cndmask_b32_e32 v30, 0, v30, vcc
	v_mov_b32_e32 v32, 0xffffff82
	v_cmp_eq_u32_e32 vcc, 0, v15
	v_cndmask_b32_e32 v15, v29, v32, vcc
	v_mov_b32_e32 v29, 0x78
	v_cndmask_b32_e32 v29, v30, v29, vcc
	v_or_b32_e32 v31, 0x800000, v4
	v_add_u32_e32 v30, 20, v29
	v_cndmask_b32_e32 v4, v31, v4, vcc
	v_lshlrev_b64 v[30:31], v30, -1
	v_not_b32_e32 v30, v30
	v_and_b32_e32 v32, v4, v30
	v_add_u32_e32 v30, 19, v29
	v_lshrrev_b64 v[4:5], v29, v[4:5]
	v_not_b32_e32 v31, v31
	v_lshlrev_b64 v[34:35], v30, 1
	v_lshrrev_b32_e32 v30, 23, v4
	v_and_b32_e32 v33, 0, v31
	v_add3_u32 v30, v29, v15, v30
	v_bfe_u32 v29, v4, 20, 1
	v_add_u32_e32 v29, -1, v29
	v_cmp_eq_u64_e32 vcc, v[32:33], v[34:35]
	v_cndmask_b32_e32 v29, 0, v29, vcc
	v_add_u32_e32 v29, v29, v4
	v_and_b32_e32 v29, 0xfffff, v29
	v_add_co_u32_e32 v4, vcc, v29, v4
	v_add_u32_e32 v15, 6, v30
	v_addc_co_u32_e32 v5, vcc, 0, v5, vcc
	v_cmp_ne_u32_e32 vcc, 0, v15
                                        ; implicit-def: $vgpr29
	s_and_saveexec_b64 s[0:1], vcc
	s_xor_b64 s[0:1], exec, s[0:1]
; %bb.222:
	s_mov_b64 s[18:19], 0xffffff
	v_add_u32_e32 v29, 7, v30
	v_cmp_lt_u64_e32 vcc, s[18:19], v[4:5]
	v_cndmask_b32_e32 v29, v15, v29, vcc
	v_cndmask_b32_e64 v15, 0, 1, vcc
	v_lshrrev_b64 v[4:5], v15, v[4:5]
; %bb.223:
	s_andn2_saveexec_b64 s[0:1], s[0:1]
; %bb.224:
	v_bfe_u32 v29, v4, 23, 1
; %bb.225:
	s_or_b64 exec, exec, s[0:1]
	v_lshrrev_b64 v[4:5], 20, v[4:5]
	v_cmp_gt_i32_e32 vcc, 16, v29
	v_cndmask_b32_e32 v5, 0, v5, vcc
	v_cndmask_b32_e32 v4, 7, v4, vcc
	v_cmp_ne_u32_e32 vcc, 0, v29
	v_cmp_ne_u64_e64 s[0:1], 0, v[4:5]
	s_or_b64 s[0:1], vcc, s[0:1]
                                        ; implicit-def: $vgpr15
	s_and_saveexec_b64 s[18:19], s[0:1]
	s_xor_b64 s[0:1], exec, s[18:19]
; %bb.226:
	v_min_i32_e32 v5, 15, v29
	v_lshl_or_b32 v5, v5, 3, v28
	v_and_or_b32 v15, v4, 7, v5
                                        ; implicit-def: $vgpr28
; %bb.227:
	s_andn2_saveexec_b64 s[0:1], s[0:1]
; %bb.228:
	v_mov_b32_e32 v15, v28
; %bb.229:
	s_or_b64 exec, exec, s[0:1]
.LBB2_230:
	s_or_b64 exec, exec, s[16:17]
.LBB2_231:
	s_andn2_saveexec_b64 s[0:1], s[14:15]
	s_or_b64 exec, exec, s[0:1]
                                        ; implicit-def: $vgpr29
                                        ; implicit-def: $vgpr4_vgpr5
.LBB2_232:
	s_andn2_saveexec_b64 s[0:1], s[8:9]
; %bb.233:
	s_movk_i32 s8, 0x7f
	v_or_b32_sdwa v28, v29, s8 dst_sel:DWORD dst_unused:UNUSED_PAD src0_sel:BYTE_3 src1_sel:DWORD
	v_cmp_eq_u64_e32 vcc, 0, v[4:5]
	v_cndmask_b32_e32 v15, v28, v15, vcc
; %bb.234:
	s_or_b64 exec, exec, s[0:1]
	v_mul_f32_e32 v4, v9, v13
	v_max_f32_e32 v4, 0xc3e00000, v4
	v_min_f32_e32 v29, 0x43e00000, v4
	v_mov_b32_e32 v5, 0
	s_movk_i32 s0, 0x80
	v_and_b32_sdwa v28, v29, s0 dst_sel:DWORD dst_unused:UNUSED_PAD src0_sel:BYTE_3 src1_sel:DWORD
	v_and_b32_e32 v30, 0x7f800000, v29
	v_mov_b32_e32 v31, v5
	s_mov_b64 s[0:1], 0x7f800000
	v_and_b32_e32 v4, 0x7fffff, v29
	v_or_b32_e32 v13, 0x7e, v28
	v_cmp_ne_u64_e32 vcc, s[0:1], v[30:31]
	s_and_saveexec_b64 s[0:1], vcc
	s_xor_b64 s[8:9], exec, s[0:1]
	s_cbranch_execz .LBB2_248
; %bb.235:
	v_and_b32_e32 v30, 0x7fffffff, v29
	v_mov_b32_e32 v31, v5
	s_mov_b64 s[0:1], 0x43e00001
	v_cmp_gt_u64_e32 vcc, s[0:1], v[30:31]
	s_and_saveexec_b64 s[0:1], vcc
	s_xor_b64 s[14:15], exec, s[0:1]
	s_cbranch_execz .LBB2_247
; %bb.236:
	v_cmp_ne_u32_e32 vcc, 0, v29
	v_mov_b32_e32 v13, 0
	s_and_saveexec_b64 s[16:17], vcc
	s_cbranch_execz .LBB2_246
; %bb.237:
	v_bfe_u32 v13, v29, 23, 8
	s_movk_i32 s0, 0x7a
	v_sub_u32_e32 v30, 0x79, v13
	v_cmp_gt_u32_e32 vcc, s0, v13
	v_add_u32_e32 v29, 0xffffff81, v13
	v_cndmask_b32_e32 v30, 0, v30, vcc
	v_mov_b32_e32 v32, 0xffffff82
	v_cmp_eq_u32_e32 vcc, 0, v13
	v_cndmask_b32_e32 v13, v29, v32, vcc
	v_mov_b32_e32 v29, 0x78
	v_cndmask_b32_e32 v29, v30, v29, vcc
	v_or_b32_e32 v31, 0x800000, v4
	v_add_u32_e32 v30, 20, v29
	v_cndmask_b32_e32 v4, v31, v4, vcc
	v_lshlrev_b64 v[30:31], v30, -1
	v_not_b32_e32 v30, v30
	v_and_b32_e32 v32, v4, v30
	v_add_u32_e32 v30, 19, v29
	v_lshrrev_b64 v[4:5], v29, v[4:5]
	v_not_b32_e32 v31, v31
	v_lshlrev_b64 v[34:35], v30, 1
	v_lshrrev_b32_e32 v30, 23, v4
	v_and_b32_e32 v33, 0, v31
	v_add3_u32 v30, v29, v13, v30
	v_bfe_u32 v29, v4, 20, 1
	v_add_u32_e32 v29, -1, v29
	v_cmp_eq_u64_e32 vcc, v[32:33], v[34:35]
	v_cndmask_b32_e32 v29, 0, v29, vcc
	v_add_u32_e32 v29, v29, v4
	v_and_b32_e32 v29, 0xfffff, v29
	v_add_co_u32_e32 v4, vcc, v29, v4
	v_add_u32_e32 v13, 6, v30
	v_addc_co_u32_e32 v5, vcc, 0, v5, vcc
	v_cmp_ne_u32_e32 vcc, 0, v13
                                        ; implicit-def: $vgpr29
	s_and_saveexec_b64 s[0:1], vcc
	s_xor_b64 s[0:1], exec, s[0:1]
; %bb.238:
	s_mov_b64 s[18:19], 0xffffff
	v_add_u32_e32 v29, 7, v30
	v_cmp_lt_u64_e32 vcc, s[18:19], v[4:5]
	v_cndmask_b32_e32 v29, v13, v29, vcc
	v_cndmask_b32_e64 v13, 0, 1, vcc
	v_lshrrev_b64 v[4:5], v13, v[4:5]
; %bb.239:
	s_andn2_saveexec_b64 s[0:1], s[0:1]
; %bb.240:
	v_bfe_u32 v29, v4, 23, 1
; %bb.241:
	s_or_b64 exec, exec, s[0:1]
	v_lshrrev_b64 v[4:5], 20, v[4:5]
	v_cmp_gt_i32_e32 vcc, 16, v29
	v_cndmask_b32_e32 v5, 0, v5, vcc
	v_cndmask_b32_e32 v4, 7, v4, vcc
	v_cmp_ne_u32_e32 vcc, 0, v29
	v_cmp_ne_u64_e64 s[0:1], 0, v[4:5]
	s_or_b64 s[0:1], vcc, s[0:1]
                                        ; implicit-def: $vgpr13
	s_and_saveexec_b64 s[18:19], s[0:1]
	s_xor_b64 s[0:1], exec, s[18:19]
; %bb.242:
	v_min_i32_e32 v5, 15, v29
	v_lshl_or_b32 v5, v5, 3, v28
	v_and_or_b32 v13, v4, 7, v5
                                        ; implicit-def: $vgpr28
; %bb.243:
	s_andn2_saveexec_b64 s[0:1], s[0:1]
; %bb.244:
	v_mov_b32_e32 v13, v28
; %bb.245:
	s_or_b64 exec, exec, s[0:1]
.LBB2_246:
	s_or_b64 exec, exec, s[16:17]
.LBB2_247:
	s_andn2_saveexec_b64 s[0:1], s[14:15]
	s_or_b64 exec, exec, s[0:1]
                                        ; implicit-def: $vgpr29
                                        ; implicit-def: $vgpr4_vgpr5
.LBB2_248:
	s_andn2_saveexec_b64 s[0:1], s[8:9]
; %bb.249:
	s_movk_i32 s8, 0x7f
	v_or_b32_sdwa v28, v29, s8 dst_sel:DWORD dst_unused:UNUSED_PAD src0_sel:BYTE_3 src1_sel:DWORD
	v_cmp_eq_u64_e32 vcc, 0, v[4:5]
	v_cndmask_b32_e32 v13, v28, v13, vcc
; %bb.250:
	s_or_b64 exec, exec, s[0:1]
	v_mul_f32_e32 v4, v9, v11
	v_max_f32_e32 v4, 0xc3e00000, v4
	v_min_f32_e32 v29, 0x43e00000, v4
	v_mov_b32_e32 v5, 0
	s_movk_i32 s0, 0x80
	v_and_b32_sdwa v28, v29, s0 dst_sel:DWORD dst_unused:UNUSED_PAD src0_sel:BYTE_3 src1_sel:DWORD
	v_and_b32_e32 v30, 0x7f800000, v29
	v_mov_b32_e32 v31, v5
	s_mov_b64 s[0:1], 0x7f800000
	v_and_b32_e32 v4, 0x7fffff, v29
	v_or_b32_e32 v11, 0x7e, v28
	v_cmp_ne_u64_e32 vcc, s[0:1], v[30:31]
	s_and_saveexec_b64 s[0:1], vcc
	s_xor_b64 s[8:9], exec, s[0:1]
	s_cbranch_execz .LBB2_264
; %bb.251:
	v_and_b32_e32 v30, 0x7fffffff, v29
	v_mov_b32_e32 v31, v5
	s_mov_b64 s[0:1], 0x43e00001
	v_cmp_gt_u64_e32 vcc, s[0:1], v[30:31]
	s_and_saveexec_b64 s[0:1], vcc
	s_xor_b64 s[14:15], exec, s[0:1]
	s_cbranch_execz .LBB2_263
; %bb.252:
	v_cmp_ne_u32_e32 vcc, 0, v29
	v_mov_b32_e32 v11, 0
	s_and_saveexec_b64 s[16:17], vcc
	s_cbranch_execz .LBB2_262
; %bb.253:
	v_bfe_u32 v11, v29, 23, 8
	s_movk_i32 s0, 0x7a
	v_sub_u32_e32 v30, 0x79, v11
	v_cmp_gt_u32_e32 vcc, s0, v11
	v_add_u32_e32 v29, 0xffffff81, v11
	v_cndmask_b32_e32 v30, 0, v30, vcc
	v_mov_b32_e32 v32, 0xffffff82
	v_cmp_eq_u32_e32 vcc, 0, v11
	v_cndmask_b32_e32 v11, v29, v32, vcc
	v_mov_b32_e32 v29, 0x78
	v_cndmask_b32_e32 v29, v30, v29, vcc
	v_or_b32_e32 v31, 0x800000, v4
	v_add_u32_e32 v30, 20, v29
	v_cndmask_b32_e32 v4, v31, v4, vcc
	v_lshlrev_b64 v[30:31], v30, -1
	v_not_b32_e32 v30, v30
	v_and_b32_e32 v32, v4, v30
	v_add_u32_e32 v30, 19, v29
	v_lshrrev_b64 v[4:5], v29, v[4:5]
	v_not_b32_e32 v31, v31
	v_lshlrev_b64 v[34:35], v30, 1
	v_lshrrev_b32_e32 v30, 23, v4
	v_and_b32_e32 v33, 0, v31
	v_add3_u32 v30, v29, v11, v30
	v_bfe_u32 v29, v4, 20, 1
	v_add_u32_e32 v29, -1, v29
	v_cmp_eq_u64_e32 vcc, v[32:33], v[34:35]
	v_cndmask_b32_e32 v29, 0, v29, vcc
	v_add_u32_e32 v29, v29, v4
	v_and_b32_e32 v29, 0xfffff, v29
	v_add_co_u32_e32 v4, vcc, v29, v4
	v_add_u32_e32 v11, 6, v30
	v_addc_co_u32_e32 v5, vcc, 0, v5, vcc
	v_cmp_ne_u32_e32 vcc, 0, v11
                                        ; implicit-def: $vgpr29
	s_and_saveexec_b64 s[0:1], vcc
	s_xor_b64 s[0:1], exec, s[0:1]
; %bb.254:
	s_mov_b64 s[18:19], 0xffffff
	v_add_u32_e32 v29, 7, v30
	v_cmp_lt_u64_e32 vcc, s[18:19], v[4:5]
	v_cndmask_b32_e32 v29, v11, v29, vcc
	v_cndmask_b32_e64 v11, 0, 1, vcc
	v_lshrrev_b64 v[4:5], v11, v[4:5]
; %bb.255:
	s_andn2_saveexec_b64 s[0:1], s[0:1]
; %bb.256:
	v_bfe_u32 v29, v4, 23, 1
; %bb.257:
	s_or_b64 exec, exec, s[0:1]
	v_lshrrev_b64 v[4:5], 20, v[4:5]
	v_cmp_gt_i32_e32 vcc, 16, v29
	v_cndmask_b32_e32 v5, 0, v5, vcc
	v_cndmask_b32_e32 v4, 7, v4, vcc
	v_cmp_ne_u32_e32 vcc, 0, v29
	v_cmp_ne_u64_e64 s[0:1], 0, v[4:5]
	s_or_b64 s[0:1], vcc, s[0:1]
                                        ; implicit-def: $vgpr11
	s_and_saveexec_b64 s[18:19], s[0:1]
	s_xor_b64 s[0:1], exec, s[18:19]
; %bb.258:
	v_min_i32_e32 v5, 15, v29
	v_lshl_or_b32 v5, v5, 3, v28
	v_and_or_b32 v11, v4, 7, v5
                                        ; implicit-def: $vgpr28
; %bb.259:
	s_andn2_saveexec_b64 s[0:1], s[0:1]
; %bb.260:
	v_mov_b32_e32 v11, v28
; %bb.261:
	s_or_b64 exec, exec, s[0:1]
.LBB2_262:
	s_or_b64 exec, exec, s[16:17]
.LBB2_263:
	s_andn2_saveexec_b64 s[0:1], s[14:15]
	s_or_b64 exec, exec, s[0:1]
                                        ; implicit-def: $vgpr29
                                        ; implicit-def: $vgpr4_vgpr5
.LBB2_264:
	s_andn2_saveexec_b64 s[0:1], s[8:9]
; %bb.265:
	s_movk_i32 s8, 0x7f
	v_or_b32_sdwa v28, v29, s8 dst_sel:DWORD dst_unused:UNUSED_PAD src0_sel:BYTE_3 src1_sel:DWORD
	v_cmp_eq_u64_e32 vcc, 0, v[4:5]
	v_cndmask_b32_e32 v11, v28, v11, vcc
; %bb.266:
	s_or_b64 exec, exec, s[0:1]
	v_mul_f32_e32 v4, v9, v8
	v_max_f32_e32 v4, 0xc3e00000, v4
	v_min_f32_e32 v28, 0x43e00000, v4
	v_mov_b32_e32 v5, 0
	s_movk_i32 s0, 0x80
	v_and_b32_sdwa v8, v28, s0 dst_sel:DWORD dst_unused:UNUSED_PAD src0_sel:BYTE_3 src1_sel:DWORD
	v_and_b32_e32 v30, 0x7f800000, v28
	v_mov_b32_e32 v31, v5
	s_mov_b64 s[0:1], 0x7f800000
	v_and_b32_e32 v4, 0x7fffff, v28
	v_or_b32_e32 v9, 0x7e, v8
	v_cmp_ne_u64_e32 vcc, s[0:1], v[30:31]
	s_and_saveexec_b64 s[0:1], vcc
	s_xor_b64 s[8:9], exec, s[0:1]
	s_cbranch_execz .LBB2_280
; %bb.267:
	v_and_b32_e32 v30, 0x7fffffff, v28
	v_mov_b32_e32 v31, v5
	s_mov_b64 s[0:1], 0x43e00001
	v_cmp_gt_u64_e32 vcc, s[0:1], v[30:31]
	s_and_saveexec_b64 s[0:1], vcc
	s_xor_b64 s[14:15], exec, s[0:1]
	s_cbranch_execz .LBB2_279
; %bb.268:
	v_cmp_ne_u32_e32 vcc, 0, v28
	v_mov_b32_e32 v9, 0
	s_and_saveexec_b64 s[16:17], vcc
	s_cbranch_execz .LBB2_278
; %bb.269:
	v_bfe_u32 v9, v28, 23, 8
	s_movk_i32 s0, 0x7a
	v_sub_u32_e32 v29, 0x79, v9
	v_cmp_gt_u32_e32 vcc, s0, v9
	v_add_u32_e32 v28, 0xffffff81, v9
	v_cndmask_b32_e32 v29, 0, v29, vcc
	v_mov_b32_e32 v31, 0xffffff82
	v_cmp_eq_u32_e32 vcc, 0, v9
	v_cndmask_b32_e32 v9, v28, v31, vcc
	v_mov_b32_e32 v28, 0x78
	v_cndmask_b32_e32 v34, v29, v28, vcc
	v_add_u32_e32 v28, 20, v34
	v_or_b32_e32 v30, 0x800000, v4
	v_lshlrev_b64 v[28:29], v28, -1
	v_cndmask_b32_e32 v4, v30, v4, vcc
	v_not_b32_e32 v28, v28
	v_and_b32_e32 v30, v4, v28
	v_add_u32_e32 v28, 19, v34
	v_lshrrev_b64 v[4:5], v34, v[4:5]
	v_not_b32_e32 v29, v29
	v_lshlrev_b64 v[32:33], v28, 1
	v_lshrrev_b32_e32 v28, 23, v4
	v_and_b32_e32 v31, 0, v29
	v_add3_u32 v29, v34, v9, v28
	v_bfe_u32 v28, v4, 20, 1
	v_add_u32_e32 v28, -1, v28
	v_cmp_eq_u64_e32 vcc, v[30:31], v[32:33]
	v_cndmask_b32_e32 v28, 0, v28, vcc
	v_add_u32_e32 v28, v28, v4
	v_and_b32_e32 v28, 0xfffff, v28
	v_add_co_u32_e32 v4, vcc, v28, v4
	v_add_u32_e32 v9, 6, v29
	v_addc_co_u32_e32 v5, vcc, 0, v5, vcc
	v_cmp_ne_u32_e32 vcc, 0, v9
                                        ; implicit-def: $vgpr28
	s_and_saveexec_b64 s[0:1], vcc
	s_xor_b64 s[0:1], exec, s[0:1]
; %bb.270:
	s_mov_b64 s[18:19], 0xffffff
	v_add_u32_e32 v28, 7, v29
	v_cmp_lt_u64_e32 vcc, s[18:19], v[4:5]
	v_cndmask_b32_e32 v28, v9, v28, vcc
	v_cndmask_b32_e64 v9, 0, 1, vcc
	v_lshrrev_b64 v[4:5], v9, v[4:5]
; %bb.271:
	s_andn2_saveexec_b64 s[0:1], s[0:1]
; %bb.272:
	v_bfe_u32 v28, v4, 23, 1
; %bb.273:
	s_or_b64 exec, exec, s[0:1]
	v_lshrrev_b64 v[4:5], 20, v[4:5]
	v_cmp_gt_i32_e32 vcc, 16, v28
	v_cndmask_b32_e32 v5, 0, v5, vcc
	v_cndmask_b32_e32 v4, 7, v4, vcc
	v_cmp_ne_u32_e32 vcc, 0, v28
	v_cmp_ne_u64_e64 s[0:1], 0, v[4:5]
	s_or_b64 s[0:1], vcc, s[0:1]
                                        ; implicit-def: $vgpr9
	s_and_saveexec_b64 s[18:19], s[0:1]
	s_xor_b64 s[0:1], exec, s[18:19]
; %bb.274:
	v_min_i32_e32 v5, 15, v28
	v_lshl_or_b32 v5, v5, 3, v8
	v_and_or_b32 v9, v4, 7, v5
                                        ; implicit-def: $vgpr8
; %bb.275:
	s_andn2_saveexec_b64 s[0:1], s[0:1]
; %bb.276:
	v_mov_b32_e32 v9, v8
; %bb.277:
	s_or_b64 exec, exec, s[0:1]
.LBB2_278:
	s_or_b64 exec, exec, s[16:17]
.LBB2_279:
	s_andn2_saveexec_b64 s[0:1], s[14:15]
	s_or_b64 exec, exec, s[0:1]
                                        ; implicit-def: $vgpr28
                                        ; implicit-def: $vgpr4_vgpr5
.LBB2_280:
	s_andn2_saveexec_b64 s[0:1], s[8:9]
; %bb.281:
	s_movk_i32 s8, 0x7f
	v_or_b32_sdwa v8, v28, s8 dst_sel:DWORD dst_unused:UNUSED_PAD src0_sel:BYTE_3 src1_sel:DWORD
	v_cmp_eq_u64_e32 vcc, 0, v[4:5]
	v_cndmask_b32_e32 v9, v8, v9, vcc
; %bb.282:
	s_or_b64 exec, exec, s[0:1]
	v_mov_b32_e32 v8, 0x240
	v_lshlrev_b64 v[4:5], 3, v[18:19]
	v_mad_i64_i32 v[18:19], s[0:1], s20, v8, v[20:21]
	v_add_co_u32_e32 v4, vcc, v18, v4
	v_addc_co_u32_e32 v5, vcc, v19, v5, vcc
	v_add_co_u32_e32 v2, vcc, v2, v1
	v_lshlrev_b16_e32 v1, 8, v13
	v_lshlrev_b16_e32 v8, 8, v9
	v_or_b32_sdwa v1, v15, v1 dst_sel:DWORD dst_unused:UNUSED_PAD src0_sel:BYTE_0 src1_sel:DWORD
	v_or_b32_sdwa v8, v11, v8 dst_sel:WORD_1 dst_unused:UNUSED_PAD src0_sel:BYTE_0 src1_sel:DWORD
	v_or_b32_sdwa v19, v1, v8 dst_sel:DWORD dst_unused:UNUSED_PAD src0_sel:WORD_0 src1_sel:DWORD
	v_lshlrev_b16_e32 v1, 8, v25
	v_lshlrev_b16_e32 v8, 8, v22
	v_or_b32_sdwa v1, v27, v1 dst_sel:DWORD dst_unused:UNUSED_PAD src0_sel:BYTE_0 src1_sel:DWORD
	v_or_b32_sdwa v8, v23, v8 dst_sel:WORD_1 dst_unused:UNUSED_PAD src0_sel:BYTE_0 src1_sel:DWORD
	v_or_b32_sdwa v18, v1, v8 dst_sel:DWORD dst_unused:UNUSED_PAD src0_sel:WORD_0 src1_sel:DWORD
	v_lshlrev_b16_e32 v1, 8, v17
	v_lshlrev_b16_e32 v8, 8, v26
	v_or_b32_sdwa v1, v16, v1 dst_sel:DWORD dst_unused:UNUSED_PAD src0_sel:BYTE_0 src1_sel:DWORD
	v_or_b32_sdwa v8, v24, v8 dst_sel:WORD_1 dst_unused:UNUSED_PAD src0_sel:BYTE_0 src1_sel:DWORD
	v_or_b32_sdwa v17, v1, v8 dst_sel:DWORD dst_unused:UNUSED_PAD src0_sel:WORD_0 src1_sel:DWORD
	v_lshlrev_b16_e32 v1, 8, v10
	v_or_b32_sdwa v1, v7, v1 dst_sel:DWORD dst_unused:UNUSED_PAD src0_sel:BYTE_0 src1_sel:DWORD
	v_lshlrev_b16_e32 v7, 8, v14
	v_addc_co_u32_e32 v3, vcc, 0, v3, vcc
	v_or_b32_sdwa v7, v12, v7 dst_sel:WORD_1 dst_unused:UNUSED_PAD src0_sel:BYTE_0 src1_sel:DWORD
	v_and_b32_e32 v0, 3, v0
	v_or_b32_sdwa v16, v1, v7 dst_sel:DWORD dst_unused:UNUSED_PAD src0_sel:WORD_0 src1_sel:DWORD
	v_cmp_eq_u32_e32 vcc, 0, v0
	global_store_dwordx4 v[2:3], v[16:19], off
	s_and_saveexec_b64 s[0:1], vcc
	s_cbranch_execz .LBB2_284
; %bb.283:
	v_add_f32_e32 v1, 0x42fe0000, v6
	v_min_f32_e32 v1, 0x437f0000, v1
	v_max_f32_e32 v1, 0, v1
	v_cvt_i32_f32_e32 v2, v1
	v_lshrrev_b32_e32 v0, 2, v38
	v_add_co_u32_e32 v0, vcc, v4, v0
	v_addc_co_u32_e32 v1, vcc, 0, v5, vcc
	global_store_byte v[0:1], v2, off
.LBB2_284:
	s_or_b64 exec, exec, s[0:1]
	v_cmp_eq_u32_e32 vcc, 0, v38
	s_and_saveexec_b64 s[0:1], vcc
	s_cbranch_execz .LBB2_286
; %bb.285:
	v_mov_b32_e32 v0, 0
	global_store_byte v[4:5], v0, off offset:7
.LBB2_286:
	s_or_b64 exec, exec, s[0:1]
                                        ; implicit-def: $vgpr1
                                        ; implicit-def: $vgpr33
                                        ; implicit-def: $vgpr34
                                        ; implicit-def: $vgpr4
                                        ; implicit-def: $vgpr5
                                        ; implicit-def: $vgpr6
                                        ; implicit-def: $vgpr7
                                        ; implicit-def: $vgpr36
                                        ; implicit-def: $vgpr37
                                        ; implicit-def: $vgpr9
                                        ; implicit-def: $vgpr10
                                        ; implicit-def: $vgpr12
                                        ; implicit-def: $vgpr39
                                        ; implicit-def: $vgpr14
                                        ; implicit-def: $vgpr40
                                        ; implicit-def: $vgpr16
                                        ; implicit-def: $vgpr17
                                        ; implicit-def: $vgpr2_vgpr3
.LBB2_287:
	s_andn2_saveexec_b64 s[0:1], s[2:3]
                                        ; implicit-def: $vgpr35
	s_cbranch_execz .LBB2_289
; %bb.288:
	v_lshlrev_b32_e32 v0, 1, v1
	v_add_co_u32_e32 v18, vcc, v2, v0
	s_mov_b32 s0, 0x5040100
	v_addc_co_u32_e32 v19, vcc, 0, v3, vcc
	v_perm_b32 v3, v37, v36, s0
	v_perm_b32 v2, v7, v6, s0
	v_perm_b32 v1, v5, v4, s0
	v_perm_b32 v0, v34, v33, s0
	global_store_dwordx4 v[18:19], v[0:3], off offset:-448
	s_nop 0
	v_perm_b32 v3, v17, v16, s0
	v_perm_b32 v2, v40, v14, s0
	;; [unrolled: 1-line block ×4, first 2 shown]
	global_store_dwordx4 v[18:19], v[0:3], off offset:-432
.LBB2_289:
	s_or_b64 exec, exec, s[10:11]
                                        ; implicit-def: $vgpr2_vgpr3_vgpr4_vgpr5_vgpr6_vgpr7_vgpr8_vgpr9_vgpr10_vgpr11_vgpr12_vgpr13_vgpr14_vgpr15_vgpr16_vgpr17
                                        ; implicit-def: $vgpr34
                                        ; implicit-def: $vgpr36
                                        ; implicit-def: $vgpr1
	s_andn2_saveexec_b64 s[0:1], s[12:13]
	s_cbranch_execnz .LBB2_17
	s_branch .LBB2_18
	.section	.rodata,"a",@progbits
	.p2align	6, 0x0
	.amdhsa_kernel _ZN4vllm21deepseek_v4_fused_ops47fusedDeepseekV4QNormRopeKVRopeQuantInsertKernelIN3c104HalfELi32EEEvPKT_PS4_S6_PhPKlSA_PKffiiiii
		.amdhsa_group_segment_fixed_size 0
		.amdhsa_private_segment_fixed_size 0
		.amdhsa_kernarg_size 336
		.amdhsa_user_sgpr_count 6
		.amdhsa_user_sgpr_private_segment_buffer 1
		.amdhsa_user_sgpr_dispatch_ptr 0
		.amdhsa_user_sgpr_queue_ptr 0
		.amdhsa_user_sgpr_kernarg_segment_ptr 1
		.amdhsa_user_sgpr_dispatch_id 0
		.amdhsa_user_sgpr_flat_scratch_init 0
		.amdhsa_user_sgpr_kernarg_preload_length 0
		.amdhsa_user_sgpr_kernarg_preload_offset 0
		.amdhsa_user_sgpr_private_segment_size 0
		.amdhsa_uses_dynamic_stack 0
		.amdhsa_system_sgpr_private_segment_wavefront_offset 0
		.amdhsa_system_sgpr_workgroup_id_x 1
		.amdhsa_system_sgpr_workgroup_id_y 0
		.amdhsa_system_sgpr_workgroup_id_z 0
		.amdhsa_system_sgpr_workgroup_info 0
		.amdhsa_system_vgpr_workitem_id 0
		.amdhsa_next_free_vgpr 48
		.amdhsa_next_free_sgpr 28
		.amdhsa_accum_offset 48
		.amdhsa_reserve_vcc 1
		.amdhsa_reserve_flat_scratch 0
		.amdhsa_float_round_mode_32 0
		.amdhsa_float_round_mode_16_64 0
		.amdhsa_float_denorm_mode_32 3
		.amdhsa_float_denorm_mode_16_64 3
		.amdhsa_dx10_clamp 1
		.amdhsa_ieee_mode 1
		.amdhsa_fp16_overflow 0
		.amdhsa_tg_split 0
		.amdhsa_exception_fp_ieee_invalid_op 0
		.amdhsa_exception_fp_denorm_src 0
		.amdhsa_exception_fp_ieee_div_zero 0
		.amdhsa_exception_fp_ieee_overflow 0
		.amdhsa_exception_fp_ieee_underflow 0
		.amdhsa_exception_fp_ieee_inexact 0
		.amdhsa_exception_int_div_zero 0
	.end_amdhsa_kernel
	.section	.text._ZN4vllm21deepseek_v4_fused_ops47fusedDeepseekV4QNormRopeKVRopeQuantInsertKernelIN3c104HalfELi32EEEvPKT_PS4_S6_PhPKlSA_PKffiiiii,"axG",@progbits,_ZN4vllm21deepseek_v4_fused_ops47fusedDeepseekV4QNormRopeKVRopeQuantInsertKernelIN3c104HalfELi32EEEvPKT_PS4_S6_PhPKlSA_PKffiiiii,comdat
.Lfunc_end2:
	.size	_ZN4vllm21deepseek_v4_fused_ops47fusedDeepseekV4QNormRopeKVRopeQuantInsertKernelIN3c104HalfELi32EEEvPKT_PS4_S6_PhPKlSA_PKffiiiii, .Lfunc_end2-_ZN4vllm21deepseek_v4_fused_ops47fusedDeepseekV4QNormRopeKVRopeQuantInsertKernelIN3c104HalfELi32EEEvPKT_PS4_S6_PhPKlSA_PKffiiiii
                                        ; -- End function
	.section	.AMDGPU.csdata,"",@progbits
; Kernel info:
; codeLenInByte = 11612
; NumSgprs: 32
; NumVgprs: 48
; NumAgprs: 0
; TotalNumVgprs: 48
; ScratchSize: 0
; MemoryBound: 1
; FloatMode: 240
; IeeeMode: 1
; LDSByteSize: 0 bytes/workgroup (compile time only)
; SGPRBlocks: 3
; VGPRBlocks: 5
; NumSGPRsForWavesPerEU: 32
; NumVGPRsForWavesPerEU: 48
; AccumOffset: 48
; Occupancy: 8
; WaveLimiterHint : 1
; COMPUTE_PGM_RSRC2:SCRATCH_EN: 0
; COMPUTE_PGM_RSRC2:USER_SGPR: 6
; COMPUTE_PGM_RSRC2:TRAP_HANDLER: 0
; COMPUTE_PGM_RSRC2:TGID_X_EN: 1
; COMPUTE_PGM_RSRC2:TGID_Y_EN: 0
; COMPUTE_PGM_RSRC2:TGID_Z_EN: 0
; COMPUTE_PGM_RSRC2:TIDIG_COMP_CNT: 0
; COMPUTE_PGM_RSRC3_GFX90A:ACCUM_OFFSET: 11
; COMPUTE_PGM_RSRC3_GFX90A:TG_SPLIT: 0
	.section	.text._ZN4vllm21deepseek_v4_fused_ops47fusedDeepseekV4QNormRopeKVRopeQuantInsertKernelIN3c104HalfELi64EEEvPKT_PS4_S6_PhPKlSA_PKffiiiii,"axG",@progbits,_ZN4vllm21deepseek_v4_fused_ops47fusedDeepseekV4QNormRopeKVRopeQuantInsertKernelIN3c104HalfELi64EEEvPKT_PS4_S6_PhPKlSA_PKffiiiii,comdat
	.protected	_ZN4vllm21deepseek_v4_fused_ops47fusedDeepseekV4QNormRopeKVRopeQuantInsertKernelIN3c104HalfELi64EEEvPKT_PS4_S6_PhPKlSA_PKffiiiii ; -- Begin function _ZN4vllm21deepseek_v4_fused_ops47fusedDeepseekV4QNormRopeKVRopeQuantInsertKernelIN3c104HalfELi64EEEvPKT_PS4_S6_PhPKlSA_PKffiiiii
	.globl	_ZN4vllm21deepseek_v4_fused_ops47fusedDeepseekV4QNormRopeKVRopeQuantInsertKernelIN3c104HalfELi64EEEvPKT_PS4_S6_PhPKlSA_PKffiiiii
	.p2align	8
	.type	_ZN4vllm21deepseek_v4_fused_ops47fusedDeepseekV4QNormRopeKVRopeQuantInsertKernelIN3c104HalfELi64EEEvPKT_PS4_S6_PhPKlSA_PKffiiiii,@function
_ZN4vllm21deepseek_v4_fused_ops47fusedDeepseekV4QNormRopeKVRopeQuantInsertKernelIN3c104HalfELi64EEEvPKT_PS4_S6_PhPKlSA_PKffiiiii: ; @_ZN4vllm21deepseek_v4_fused_ops47fusedDeepseekV4QNormRopeKVRopeQuantInsertKernelIN3c104HalfELi64EEEvPKT_PS4_S6_PhPKlSA_PKffiiiii
; %bb.0:
	s_load_dword s0, s[4:5], 0x5c
	s_load_dwordx4 s[16:19], s[4:5], 0x38
	v_lshrrev_b32_e32 v1, 5, v0
	s_waitcnt lgkmcnt(0)
	s_bfe_u32 s0, s0, 0xb0005
	s_mul_i32 s6, s6, s0
	v_add_u32_e32 v1, s6, v1
	s_mov_b32 s0, 0x7e07e07f
	v_mul_hi_i32 v2, v1, s0
	v_lshrrev_b32_e32 v3, 31, v2
	v_ashrrev_i32_e32 v2, 5, v2
	v_add_u32_e32 v34, v2, v3
	v_cmp_gt_i32_e32 vcc, s17, v34
	s_and_saveexec_b64 s[0:1], vcc
	s_cbranch_execz .LBB3_10
; %bb.1:
	s_load_dwordx2 s[20:21], s[4:5], 0x48
	v_lshl_add_u32 v2, v34, 6, v34
	v_sub_u32_e32 v36, v1, v2
	v_cmp_ne_u32_e64 s[0:1], 64, v36
	v_cmp_gt_i32_e64 s[2:3], s18, v34
	v_cmp_eq_u32_e32 vcc, 64, v36
	s_or_b64 s[2:3], s[0:1], s[2:3]
	s_and_b64 exec, exec, s[2:3]
	s_cbranch_execz .LBB3_10
; %bb.2:
	s_load_dwordx2 s[6:7], s[4:5], 0x8
	s_load_dwordx8 s[8:15], s[4:5], 0x18
	v_cmp_gt_i32_e64 s[2:3], s19, v36
	s_xor_b64 s[22:23], s[0:1], -1
	v_and_b32_e32 v38, 31, v0
	s_or_b64 s[22:23], s[22:23], s[2:3]
	v_lshlrev_b32_e32 v1, 4, v38
	v_ashrrev_i32_e32 v35, 31, v34
                                        ; implicit-def: $vgpr11
                                        ; implicit-def: $vgpr19
	s_and_saveexec_b64 s[24:25], s[22:23]
	s_cbranch_execz .LBB3_11
; %bb.3:
                                        ; implicit-def: $vgpr2_vgpr3
	s_and_saveexec_b64 s[2:3], vcc
	s_xor_b64 s[26:27], exec, s[2:3]
	s_cbranch_execz .LBB3_5
; %bb.4:
	s_load_dwordx2 s[2:3], s[4:5], 0x10
	v_lshlrev_b64 v[2:3], 10, v[34:35]
	s_waitcnt lgkmcnt(0)
	v_mov_b32_e32 v4, s3
	v_add_co_u32_e64 v2, s[2:3], s2, v2
	v_addc_co_u32_e64 v3, s[2:3], v4, v3, s[2:3]
	v_lshlrev_b32_e32 v4, 1, v1
	v_add_co_u32_e64 v2, s[2:3], v2, v4
	v_addc_co_u32_e64 v3, s[2:3], 0, v3, s[2:3]
.LBB3_5:
	s_andn2_saveexec_b64 s[26:27], s[26:27]
	s_cbranch_execz .LBB3_7
; %bb.6:
	s_load_dwordx2 s[2:3], s[4:5], 0x0
	v_ashrrev_i32_e32 v37, 31, v36
	v_mad_i64_i32 v[2:3], s[4:5], v34, s19, v[36:37]
	v_lshlrev_b64 v[2:3], 10, v[2:3]
	v_lshl_or_b32 v2, v1, 1, v2
	s_waitcnt lgkmcnt(0)
	v_mov_b32_e32 v4, s3
	v_add_co_u32_e64 v2, s[2:3], s2, v2
	v_addc_co_u32_e64 v3, s[2:3], v4, v3, s[2:3]
.LBB3_7:
	s_or_b64 exec, exec, s[26:27]
	global_load_dwordx4 v[16:19], v[2:3], off offset:16
	global_load_dwordx4 v[8:11], v[2:3], off
	s_or_b64 exec, exec, s[24:25]
	s_and_saveexec_b64 s[2:3], s[22:23]
	s_xor_b64 s[4:5], exec, s[2:3]
	s_cbranch_execnz .LBB3_12
.LBB3_8:
	s_andn2_saveexec_b64 s[0:1], s[4:5]
	s_cbranch_execz .LBB3_10
.LBB3_9:
	v_lshlrev_b64 v[2:3], 16, v[34:35]
	v_ashrrev_i32_e32 v37, 31, v36
	s_waitcnt lgkmcnt(0)
	v_mov_b32_e32 v0, s7
	v_add_co_u32_e32 v4, vcc, s6, v2
	v_addc_co_u32_e32 v0, vcc, v0, v3, vcc
	v_lshlrev_b64 v[2:3], 10, v[36:37]
	v_add_co_u32_e32 v2, vcc, v4, v2
	v_addc_co_u32_e32 v0, vcc, v0, v3, vcc
	v_lshlrev_b32_e32 v1, 1, v1
	s_mov_b32 s0, 0
	v_add_co_u32_e32 v4, vcc, v2, v1
	s_mov_b32 s1, s0
	v_addc_co_u32_e32 v5, vcc, 0, v0, vcc
	s_mov_b32 s2, s0
	s_mov_b32 s3, s0
	v_pk_mov_b32 v[0:1], s[0:1], s[0:1] op_sel:[0,1]
	v_pk_mov_b32 v[2:3], s[2:3], s[2:3] op_sel:[0,1]
	global_store_dwordx4 v[4:5], v[0:3], off
	global_store_dwordx4 v[4:5], v[0:3], off offset:16
.LBB3_10:
	s_endpgm
.LBB3_11:
	s_or_b64 exec, exec, s[24:25]
	s_and_saveexec_b64 s[2:3], s[22:23]
	s_xor_b64 s[4:5], exec, s[2:3]
	s_cbranch_execz .LBB3_8
.LBB3_12:
	s_waitcnt vmcnt(0)
	v_cvt_f32_f16_sdwa v3, v8 dst_sel:DWORD dst_unused:UNUSED_PAD src0_sel:WORD_1
	v_cvt_f32_f16_e32 v2, v8
	v_cvt_f32_f16_sdwa v5, v9 dst_sel:DWORD dst_unused:UNUSED_PAD src0_sel:WORD_1
	v_cvt_f32_f16_e32 v4, v9
	v_cvt_f32_f16_sdwa v7, v10 dst_sel:DWORD dst_unused:UNUSED_PAD src0_sel:WORD_1
	v_cvt_f32_f16_e32 v6, v10
	v_cvt_f32_f16_sdwa v9, v11 dst_sel:DWORD dst_unused:UNUSED_PAD src0_sel:WORD_1
	v_cvt_f32_f16_e32 v8, v11
	v_cvt_f32_f16_sdwa v11, v16 dst_sel:DWORD dst_unused:UNUSED_PAD src0_sel:WORD_1
	v_cvt_f32_f16_e32 v10, v16
	v_cvt_f32_f16_sdwa v13, v17 dst_sel:DWORD dst_unused:UNUSED_PAD src0_sel:WORD_1
	v_cvt_f32_f16_e32 v12, v17
	v_cvt_f32_f16_sdwa v15, v18 dst_sel:DWORD dst_unused:UNUSED_PAD src0_sel:WORD_1
	v_cvt_f32_f16_e32 v14, v18
	v_cvt_f32_f16_sdwa v17, v19 dst_sel:DWORD dst_unused:UNUSED_PAD src0_sel:WORD_1
	v_cvt_f32_f16_e32 v16, v19
	s_and_saveexec_b64 s[2:3], s[0:1]
	s_cbranch_execz .LBB3_14
; %bb.13:
	v_pk_mul_f32 v[18:19], v[2:3], v[2:3]
	v_pk_mul_f32 v[20:21], v[4:5], v[4:5]
	v_add_f32_e32 v18, v18, v19
	v_add_f32_e32 v18, v20, v18
	v_pk_mul_f32 v[22:23], v[6:7], v[6:7]
	v_add_f32_e32 v18, v21, v18
	v_add_f32_e32 v18, v22, v18
	;; [unrolled: 3-line block ×4, first 2 shown]
	v_pk_mul_f32 v[28:29], v[12:13], v[12:13]
	v_add_f32_e32 v18, v27, v18
	v_mbcnt_lo_u32_b32 v19, -1, 0
	v_add_f32_e32 v18, v28, v18
	v_mbcnt_hi_u32_b32 v19, -1, v19
	v_pk_mul_f32 v[30:31], v[14:15], v[14:15]
	v_add_f32_e32 v18, v29, v18
	v_and_b32_e32 v20, 0x60, v19
	v_add_f32_e32 v18, v30, v18
	v_add_u32_e32 v20, 32, v20
	v_xor_b32_e32 v21, 16, v19
	v_pk_mul_f32 v[32:33], v[16:17], v[16:17]
	v_add_f32_e32 v18, v31, v18
	v_cmp_lt_i32_e64 s[0:1], v21, v20
	v_add_f32_e32 v18, v32, v18
	v_cndmask_b32_e64 v21, v19, v21, s[0:1]
	v_add_f32_e32 v18, v33, v18
	v_lshlrev_b32_e32 v21, 2, v21
	ds_bpermute_b32 v21, v21, v18
	s_waitcnt lgkmcnt(0)
	v_add_f32_e32 v18, v18, v21
	v_xor_b32_e32 v21, 8, v19
	v_cmp_lt_i32_e64 s[0:1], v21, v20
	v_cndmask_b32_e64 v21, v19, v21, s[0:1]
	v_lshlrev_b32_e32 v21, 2, v21
	ds_bpermute_b32 v21, v21, v18
	s_waitcnt lgkmcnt(0)
	v_add_f32_e32 v18, v18, v21
	v_xor_b32_e32 v21, 4, v19
	v_cmp_lt_i32_e64 s[0:1], v21, v20
	v_cndmask_b32_e64 v21, v19, v21, s[0:1]
	;; [unrolled: 7-line block ×4, first 2 shown]
	v_lshlrev_b32_e32 v19, 2, v19
	ds_bpermute_b32 v19, v19, v18
	s_mov_b32 s0, 0x800000
	s_waitcnt lgkmcnt(0)
	v_add_f32_e32 v18, v18, v19
	v_mov_b32_e32 v19, s16
	v_fmac_f32_e32 v19, 0x3b000000, v18
	v_mul_f32_e32 v18, 0x4b800000, v19
	v_cmp_gt_f32_e64 s[0:1], s0, v19
	v_cndmask_b32_e64 v18, v19, v18, s[0:1]
	v_rsq_f32_e32 v18, v18
	v_mul_f32_e32 v19, 0x45800000, v18
	v_cndmask_b32_e64 v18, v18, v19, s[0:1]
	v_pk_mul_f32 v[16:17], v[18:19], v[16:17] op_sel_hi:[0,1]
	v_pk_mul_f32 v[14:15], v[18:19], v[14:15] op_sel_hi:[0,1]
	;; [unrolled: 1-line block ×8, first 2 shown]
.LBB3_14:
	s_or_b64 exec, exec, s[2:3]
	v_cmp_gt_u32_e64 s[0:1], 28, v38
	v_cmp_lt_u32_e64 s[2:3], 27, v38
	s_and_saveexec_b64 s[16:17], s[2:3]
	s_cbranch_execz .LBB3_19
; %bb.15:
	v_lshlrev_b64 v[18:19], 3, v[34:35]
	s_waitcnt lgkmcnt(0)
	v_mov_b32_e32 v20, s13
	v_add_co_u32_e64 v18, s[2:3], s12, v18
	v_addc_co_u32_e64 v19, s[2:3], v20, v19, s[2:3]
	global_load_dwordx2 v[18:19], v[18:19], off
	v_add_u32_e32 v20, 0xfffffe40, v1
	v_mov_b32_e32 v22, s15
	v_mov_b32_e32 v21, 0
	v_lshrrev_b32_e32 v20, 1, v20
	v_lshlrev_b64 v[20:21], 2, v[20:21]
	s_waitcnt vmcnt(0)
	v_lshlrev_b64 v[18:19], 8, v[18:19]
	v_add_co_u32_e64 v18, s[2:3], s14, v18
	v_addc_co_u32_e64 v19, s[2:3], v22, v19, s[2:3]
	v_add_co_u32_e64 v18, s[2:3], v18, v20
	v_addc_co_u32_e64 v19, s[2:3], v19, v21, s[2:3]
	global_load_dwordx4 v[22:25], v[18:19], off offset:128
	global_load_dwordx4 v[30:33], v[18:19], off offset:144
	global_load_dwordx4 v[40:43], v[18:19], off
	global_load_dwordx4 v[44:47], v[18:19], off offset:16
	s_waitcnt vmcnt(3)
	v_mul_f32_e32 v18, v3, v22
	v_mul_f32_e32 v19, v2, v22
	;; [unrolled: 1-line block ×8, first 2 shown]
	s_waitcnt vmcnt(2)
	v_mul_f32_e32 v26, v11, v30
	v_mul_f32_e32 v27, v10, v30
	;; [unrolled: 1-line block ×8, first 2 shown]
	s_waitcnt vmcnt(1)
	v_fma_f32 v18, v2, v40, -v18
	v_fmac_f32_e32 v19, v3, v40
	v_fma_f32 v20, v4, v41, -v20
	v_fmac_f32_e32 v21, v5, v41
	;; [unrolled: 2-line block ×4, first 2 shown]
	s_waitcnt vmcnt(0)
	v_fma_f32 v26, v10, v44, -v26
	v_fmac_f32_e32 v27, v11, v44
	v_fma_f32 v28, v12, v45, -v28
	v_fmac_f32_e32 v29, v13, v45
	;; [unrolled: 2-line block ×4, first 2 shown]
	v_pk_mov_b32 v[2:3], v[18:19], v[18:19] op_sel:[0,1]
	v_pk_mov_b32 v[4:5], v[20:21], v[20:21] op_sel:[0,1]
	;; [unrolled: 1-line block ×8, first 2 shown]
	s_or_b64 exec, exec, s[16:17]
	s_and_saveexec_b64 s[2:3], vcc
	s_xor_b64 s[12:13], exec, s[2:3]
	s_cbranch_execnz .LBB3_20
.LBB3_16:
	s_andn2_saveexec_b64 s[0:1], s[12:13]
	s_cbranch_execz .LBB3_18
.LBB3_17:
	v_cvt_f16_f32_e32 v0, v2
	v_cvt_f16_f32_e32 v18, v3
	v_lshlrev_b64 v[2:3], 16, v[34:35]
	v_cvt_f16_f32_e32 v19, v4
	v_cvt_f16_f32_e32 v20, v5
	v_ashrrev_i32_e32 v37, 31, v36
	v_mov_b32_e32 v4, s7
	v_add_co_u32_e32 v5, vcc, s6, v2
	v_cvt_f16_f32_e32 v6, v6
	v_cvt_f16_f32_e32 v7, v7
	v_cvt_f16_f32_e32 v8, v8
	v_cvt_f16_f32_e32 v9, v9
	v_addc_co_u32_e32 v4, vcc, v4, v3, vcc
	v_lshlrev_b64 v[2:3], 10, v[36:37]
	v_cvt_f16_f32_e32 v10, v10
	v_cvt_f16_f32_e32 v11, v11
	;; [unrolled: 1-line block ×8, first 2 shown]
	v_add_co_u32_e32 v2, vcc, v5, v2
	v_addc_co_u32_e32 v3, vcc, v4, v3, vcc
	v_lshlrev_b32_e32 v1, 1, v1
	v_add_co_u32_e32 v4, vcc, v2, v1
	v_addc_co_u32_e32 v5, vcc, 0, v3, vcc
	v_pack_b32_f16 v3, v8, v9
	v_pack_b32_f16 v2, v6, v7
	;; [unrolled: 1-line block ×4, first 2 shown]
	global_store_dwordx4 v[4:5], v[0:3], off
	s_nop 0
	v_pack_b32_f16 v3, v16, v17
	v_pack_b32_f16 v2, v14, v15
	;; [unrolled: 1-line block ×4, first 2 shown]
	global_store_dwordx4 v[4:5], v[0:3], off offset:16
.LBB3_18:
	s_or_b64 exec, exec, s[0:1]
                                        ; implicit-def: $vgpr34
                                        ; implicit-def: $vgpr36
                                        ; implicit-def: $vgpr1
	s_andn2_saveexec_b64 s[0:1], s[4:5]
	s_cbranch_execnz .LBB3_9
	s_branch .LBB3_10
.LBB3_19:
	s_or_b64 exec, exec, s[16:17]
	s_and_saveexec_b64 s[2:3], vcc
	s_waitcnt lgkmcnt(0)
	s_xor_b64 s[12:13], exec, s[2:3]
	s_cbranch_execz .LBB3_16
.LBB3_20:
	v_lshlrev_b64 v[18:19], 3, v[34:35]
	v_mov_b32_e32 v20, s11
	v_add_co_u32_e32 v18, vcc, s10, v18
	v_addc_co_u32_e32 v19, vcc, v20, v19, vcc
	global_load_dwordx2 v[18:19], v[18:19], off
	s_waitcnt vmcnt(0)
	v_cmp_lt_i64_e32 vcc, -1, v[18:19]
	s_and_saveexec_b64 s[10:11], vcc
                                        ; implicit-def: $vgpr35
	s_cbranch_execz .LBB3_289
; %bb.21:
	s_ashr_i32 s22, s20, 31
	v_or_b32_e32 v21, s22, v19
	v_mov_b32_e32 v20, 0
	v_cmp_ne_u64_e32 vcc, 0, v[20:21]
                                        ; implicit-def: $vgpr22_vgpr23
	s_and_saveexec_b64 s[2:3], vcc
	s_xor_b64 s[14:15], exec, s[2:3]
	s_cbranch_execz .LBB3_23
; %bb.22:
	s_add_u32 s2, s20, s22
	s_mov_b32 s16, s22
	s_mov_b32 s17, s22
	s_addc_u32 s3, s22, s22
	s_xor_b64 s[18:19], s[2:3], s[16:17]
	v_cvt_f32_u32_e32 v20, s18
	v_cvt_f32_u32_e32 v21, s19
	s_sub_u32 s2, 0, s18
	s_subb_u32 s3, 0, s19
	v_madmk_f32 v20, v21, 0x4f800000, v20
	v_rcp_f32_e32 v20, v20
	v_mul_f32_e32 v20, 0x5f7ffffc, v20
	v_mul_f32_e32 v21, 0x2f800000, v20
	v_trunc_f32_e32 v21, v21
	v_madmk_f32 v20, v21, 0xcf800000, v20
	v_cvt_u32_f32_e32 v21, v21
	v_cvt_u32_f32_e32 v20, v20
	v_mul_lo_u32 v22, s2, v21
	v_mul_hi_u32 v24, s2, v20
	v_mul_lo_u32 v23, s3, v20
	v_add_u32_e32 v22, v24, v22
	v_mul_lo_u32 v25, s2, v20
	v_add_u32_e32 v22, v22, v23
	v_mul_lo_u32 v24, v20, v22
	v_mul_hi_u32 v26, v20, v25
	v_mul_hi_u32 v23, v20, v22
	v_add_co_u32_e32 v24, vcc, v26, v24
	v_addc_co_u32_e32 v23, vcc, 0, v23, vcc
	v_mul_hi_u32 v27, v21, v25
	v_mul_lo_u32 v25, v21, v25
	v_add_co_u32_e32 v24, vcc, v24, v25
	v_mul_hi_u32 v26, v21, v22
	v_addc_co_u32_e32 v23, vcc, v23, v27, vcc
	v_addc_co_u32_e32 v24, vcc, 0, v26, vcc
	v_mul_lo_u32 v22, v21, v22
	v_add_co_u32_e32 v22, vcc, v23, v22
	v_addc_co_u32_e32 v23, vcc, 0, v24, vcc
	v_add_co_u32_e32 v20, vcc, v20, v22
	v_addc_co_u32_e32 v21, vcc, v21, v23, vcc
	v_mul_lo_u32 v22, s2, v21
	v_mul_hi_u32 v23, s2, v20
	v_add_u32_e32 v22, v23, v22
	v_mul_lo_u32 v23, s3, v20
	v_add_u32_e32 v22, v22, v23
	v_mul_lo_u32 v24, s2, v20
	v_mul_hi_u32 v25, v21, v24
	v_mul_lo_u32 v26, v21, v24
	v_mul_lo_u32 v28, v20, v22
	v_mul_hi_u32 v24, v20, v24
	v_mul_hi_u32 v27, v20, v22
	v_add_co_u32_e32 v24, vcc, v24, v28
	v_addc_co_u32_e32 v27, vcc, 0, v27, vcc
	v_add_co_u32_e32 v24, vcc, v24, v26
	v_mul_hi_u32 v23, v21, v22
	v_addc_co_u32_e32 v24, vcc, v27, v25, vcc
	v_addc_co_u32_e32 v23, vcc, 0, v23, vcc
	v_mul_lo_u32 v22, v21, v22
	v_add_co_u32_e32 v22, vcc, v24, v22
	v_addc_co_u32_e32 v23, vcc, 0, v23, vcc
	v_add_co_u32_e32 v22, vcc, v20, v22
	v_addc_co_u32_e32 v23, vcc, v21, v23, vcc
	v_ashrrev_i32_e32 v24, 31, v19
	v_add_co_u32_e32 v20, vcc, v18, v24
	v_addc_co_u32_e32 v21, vcc, v19, v24, vcc
	v_xor_b32_e32 v26, v20, v24
	v_xor_b32_e32 v25, v21, v24
	v_mad_u64_u32 v[20:21], s[2:3], v26, v23, 0
	v_mul_hi_u32 v27, v26, v22
	v_add_co_u32_e32 v27, vcc, v27, v20
	v_addc_co_u32_e32 v28, vcc, 0, v21, vcc
	v_mad_u64_u32 v[20:21], s[2:3], v25, v23, 0
	v_mad_u64_u32 v[22:23], s[2:3], v25, v22, 0
	v_add_co_u32_e32 v22, vcc, v27, v22
	v_addc_co_u32_e32 v22, vcc, v28, v23, vcc
	v_addc_co_u32_e32 v21, vcc, 0, v21, vcc
	v_add_co_u32_e32 v22, vcc, v22, v20
	v_addc_co_u32_e32 v23, vcc, 0, v21, vcc
	v_mul_lo_u32 v27, s19, v22
	v_mul_lo_u32 v28, s18, v23
	v_mad_u64_u32 v[20:21], s[2:3], s18, v22, 0
	v_add3_u32 v21, v21, v28, v27
	v_sub_u32_e32 v27, v25, v21
	v_mov_b32_e32 v28, s19
	v_sub_co_u32_e32 v20, vcc, v26, v20
	v_subb_co_u32_e64 v26, s[2:3], v27, v28, vcc
	v_subrev_co_u32_e64 v27, s[2:3], s18, v20
	v_subbrev_co_u32_e64 v26, s[2:3], 0, v26, s[2:3]
	v_cmp_le_u32_e64 s[2:3], s19, v26
	v_cndmask_b32_e64 v28, 0, -1, s[2:3]
	v_cmp_le_u32_e64 s[2:3], s18, v27
	v_cndmask_b32_e64 v27, 0, -1, s[2:3]
	v_cmp_eq_u32_e64 s[2:3], s19, v26
	v_cndmask_b32_e64 v26, v28, v27, s[2:3]
	v_add_co_u32_e64 v27, s[2:3], 2, v22
	v_subb_co_u32_e32 v21, vcc, v25, v21, vcc
	v_addc_co_u32_e64 v28, s[2:3], 0, v23, s[2:3]
	v_cmp_le_u32_e32 vcc, s19, v21
	v_add_co_u32_e64 v29, s[2:3], 1, v22
	v_cndmask_b32_e64 v25, 0, -1, vcc
	v_cmp_le_u32_e32 vcc, s18, v20
	v_addc_co_u32_e64 v30, s[2:3], 0, v23, s[2:3]
	v_cndmask_b32_e64 v20, 0, -1, vcc
	v_cmp_eq_u32_e32 vcc, s19, v21
	v_cmp_ne_u32_e64 s[2:3], 0, v26
	v_cndmask_b32_e32 v20, v25, v20, vcc
	v_cmp_ne_u32_e32 vcc, 0, v20
	v_cndmask_b32_e64 v21, v29, v27, s[2:3]
	v_cndmask_b32_e64 v26, v30, v28, s[2:3]
	v_cndmask_b32_e32 v21, v22, v21, vcc
	v_xor_b32_e32 v22, s16, v24
	v_cndmask_b32_e32 v20, v23, v26, vcc
	v_xor_b32_e32 v23, s17, v24
	v_xor_b32_e32 v21, v21, v22
	;; [unrolled: 1-line block ×3, first 2 shown]
	v_sub_co_u32_e32 v22, vcc, v21, v22
	v_subb_co_u32_e32 v23, vcc, v20, v23, vcc
.LBB3_23:
	s_andn2_saveexec_b64 s[2:3], s[14:15]
	s_cbranch_execz .LBB3_25
; %bb.24:
	v_cvt_f32_u32_e32 v20, s20
	s_sub_i32 s14, 0, s20
	v_rcp_iflag_f32_e32 v20, v20
	v_mul_f32_e32 v20, 0x4f7ffffe, v20
	v_cvt_u32_f32_e32 v20, v20
	v_mul_lo_u32 v21, s14, v20
	v_mul_hi_u32 v21, v20, v21
	v_add_u32_e32 v20, v20, v21
	v_mul_hi_u32 v20, v18, v20
	v_mul_lo_u32 v21, v20, s20
	v_sub_u32_e32 v21, v18, v21
	v_add_u32_e32 v22, 1, v20
	v_subrev_u32_e32 v23, s20, v21
	v_cmp_le_u32_e32 vcc, s20, v21
	v_cndmask_b32_e32 v21, v21, v23, vcc
	v_cndmask_b32_e32 v20, v20, v22, vcc
	v_add_u32_e32 v22, 1, v20
	v_cmp_le_u32_e32 vcc, s20, v21
	v_cndmask_b32_e32 v22, v20, v22, vcc
	v_mov_b32_e32 v23, 0
.LBB3_25:
	s_or_b64 exec, exec, s[2:3]
	v_cvt_f16_f32_e32 v33, v2
	v_cvt_f16_f32_e32 v34, v3
	;; [unrolled: 1-line block ×8, first 2 shown]
	v_cvt_f32_f16_e32 v35, v33
	v_cvt_f32_f16_e32 v32, v34
	v_cvt_f16_f32_e32 v9, v10
	v_cvt_f16_f32_e32 v10, v11
	v_cvt_f32_f16_e32 v31, v4
	v_cvt_f32_f16_e32 v30, v5
	v_cvt_f16_f32_e32 v12, v12
	v_cvt_f16_f32_e32 v39, v13
	v_mul_lo_u32 v24, v23, s20
	v_mul_lo_u32 v25, v22, s22
	v_mad_u64_u32 v[20:21], s[2:3], v22, s20, 0
	v_cvt_f32_f16_e32 v29, v6
	v_cvt_f32_f16_e32 v28, v7
	v_cvt_f16_f32_e32 v14, v14
	v_cvt_f16_f32_e32 v40, v15
	v_add3_u32 v21, v21, v25, v24
	v_sub_co_u32_e32 v18, vcc, v18, v20
	v_cvt_f32_f16_e32 v24, v36
	v_cvt_f32_f16_e32 v26, v37
	v_cvt_f16_f32_e32 v16, v16
	v_cvt_f16_f32_e32 v17, v17
	v_subb_co_u32_e32 v19, vcc, v19, v21, vcc
	s_ashr_i32 s14, s21, 31
	v_pk_mov_b32 v[20:21], s[8:9], s[8:9] op_sel:[0,1]
	v_cvt_f32_f16_e32 v27, v9
	v_cvt_f32_f16_e32 v25, v10
	v_max3_f32 v2, |v35|, 0, |v32|
	v_mad_u64_u32 v[20:21], s[2:3], v22, s21, v[20:21]
	v_mul_lo_u32 v41, v23, s21
	v_mul_lo_u32 v42, v22, s14
	v_cvt_f32_f16_e32 v23, v12
	v_cvt_f32_f16_e32 v22, v39
	v_max3_f32 v2, v2, |v31|, |v30|
	v_cvt_f32_f16_e32 v15, v14
	v_cvt_f32_f16_e32 v13, v40
	v_max3_f32 v2, v2, |v29|, |v28|
	;; [unrolled: 3-line block ×3, first 2 shown]
	v_max3_f32 v2, v2, |v27|, |v25|
	v_max3_f32 v2, v2, |v23|, |v22|
	;; [unrolled: 1-line block ×4, first 2 shown]
	v_mbcnt_lo_u32_b32 v2, -1, 0
	v_mbcnt_hi_u32_b32 v44, -1, v2
	v_and_b32_e32 v3, 64, v44
	v_xor_b32_e32 v2, 1, v44
	v_add_u32_e32 v45, 64, v3
	v_cmp_lt_i32_e32 vcc, v2, v45
	v_cndmask_b32_e32 v2, v44, v2, vcc
	v_lshlrev_b32_e32 v2, 2, v2
	ds_bpermute_b32 v46, v2, v43
	v_add3_u32 v21, v41, v21, v42
	v_xor_b32_e32 v42, 2, v44
	v_cmp_lt_i32_e32 vcc, v42, v45
	v_cndmask_b32_e32 v42, v44, v42, vcc
	s_waitcnt lgkmcnt(0)
	v_max_f32_e32 v41, v46, v46
	v_max_f32_e32 v41, v43, v41
	v_lshlrev_b32_e32 v42, 2, v42
	s_movk_i32 s8, 0x240
	ds_bpermute_b32 v42, v42, v41
	v_mad_u64_u32 v[2:3], s[2:3], v18, s8, v[20:21]
	v_mov_b32_e32 v44, v3
	v_mad_u64_u32 v[44:45], s[2:3], v19, s8, v[44:45]
	v_mov_b32_e32 v3, v44
	s_and_saveexec_b64 s[2:3], s[0:1]
	s_xor_b64 s[2:3], exec, s[2:3]
	s_cbranch_execz .LBB3_287
; %bb.26:
	s_mov_b32 s0, 0x38d1b717
	s_waitcnt lgkmcnt(0)
	v_max3_f32 v4, v41, v42, s0
	s_mov_b32 s8, 0x43e00000
	v_div_scale_f32 v5, s[0:1], s8, s8, v4
	v_rcp_f32_e32 v6, v5
	s_mov_b32 s0, 0x800000
	v_fma_f32 v7, -v5, v6, 1.0
	v_fmac_f32_e32 v6, v7, v6
	v_div_scale_f32 v7, vcc, v4, s8, v4
	v_mul_f32_e32 v9, v7, v6
	v_fma_f32 v10, -v5, v9, v7
	v_fmac_f32_e32 v9, v10, v6
	v_fma_f32 v5, -v5, v9, v7
	v_div_fmas_f32 v5, v5, v6, v9
	v_div_fixup_f32 v4, v5, s8, v4
	v_mov_b32_e32 v5, 0x4f800000
	v_cmp_gt_f32_e32 vcc, s0, v4
	v_cndmask_b32_e32 v5, 1.0, v5, vcc
	v_mul_f32_e32 v4, v4, v5
	v_log_f32_e32 v4, v4
	v_mov_b32_e32 v5, 0x42000000
	v_cndmask_b32_e32 v5, 0, v5, vcc
	s_mov_b32 s0, 0x42fc0000
	v_sub_f32_e32 v4, v4, v5
	v_ceil_f32_e32 v6, v4
	v_mov_b32_e32 v4, 0x42800000
	v_cmp_lt_f32_e32 vcc, s0, v6
	v_cndmask_b32_e32 v4, 0, v4, vcc
	v_sub_f32_e32 v4, v4, v6
	v_exp_f32_e32 v4, v4
	v_mov_b32_e32 v5, 0x1f800000
	v_cndmask_b32_e32 v5, 1.0, v5, vcc
	s_movk_i32 s0, 0x80
	v_mul_f32_e32 v9, v4, v5
	v_mul_f32_e32 v4, v9, v35
	v_max_f32_e32 v4, 0xc3e00000, v4
	v_min_f32_e32 v12, 0x43e00000, v4
	v_mov_b32_e32 v5, 0
	v_and_b32_sdwa v10, v12, s0 dst_sel:DWORD dst_unused:UNUSED_PAD src0_sel:BYTE_3 src1_sel:DWORD
	v_and_b32_e32 v16, 0x7f800000, v12
	v_mov_b32_e32 v17, v5
	s_mov_b64 s[0:1], 0x7f800000
	v_and_b32_e32 v4, 0x7fffff, v12
	v_or_b32_e32 v7, 0x7e, v10
	v_cmp_ne_u64_e32 vcc, s[0:1], v[16:17]
	s_and_saveexec_b64 s[0:1], vcc
	s_xor_b64 s[8:9], exec, s[0:1]
	s_cbranch_execz .LBB3_40
; %bb.27:
	v_and_b32_e32 v16, 0x7fffffff, v12
	v_mov_b32_e32 v17, v5
	s_mov_b64 s[0:1], 0x43e00001
	v_cmp_gt_u64_e32 vcc, s[0:1], v[16:17]
	s_and_saveexec_b64 s[0:1], vcc
	s_xor_b64 s[14:15], exec, s[0:1]
	s_cbranch_execz .LBB3_39
; %bb.28:
	v_cmp_ne_u32_e32 vcc, 0, v12
	v_mov_b32_e32 v7, 0
	s_and_saveexec_b64 s[16:17], vcc
	s_cbranch_execz .LBB3_38
; %bb.29:
	v_bfe_u32 v7, v12, 23, 8
	s_movk_i32 s0, 0x7a
	v_sub_u32_e32 v14, 0x79, v7
	v_cmp_gt_u32_e32 vcc, s0, v7
	v_add_u32_e32 v12, 0xffffff81, v7
	v_cndmask_b32_e32 v14, 0, v14, vcc
	v_mov_b32_e32 v17, 0xffffff82
	v_cmp_eq_u32_e32 vcc, 0, v7
	v_cndmask_b32_e32 v7, v12, v17, vcc
	v_mov_b32_e32 v12, 0x78
	v_cndmask_b32_e32 v12, v14, v12, vcc
	v_or_b32_e32 v16, 0x800000, v4
	v_add_u32_e32 v14, 20, v12
	v_cndmask_b32_e32 v4, v16, v4, vcc
	v_lshlrev_b64 v[16:17], v14, -1
	v_not_b32_e32 v14, v17
	v_not_b32_e32 v16, v16
	v_and_b32_e32 v17, 0, v14
	v_and_b32_e32 v16, v4, v16
	v_add_u32_e32 v14, 19, v12
	v_lshrrev_b64 v[4:5], v12, v[4:5]
	v_lshlrev_b64 v[34:35], v14, 1
	v_lshrrev_b32_e32 v14, 23, v4
	v_add3_u32 v14, v12, v7, v14
	v_bfe_u32 v12, v4, 20, 1
	v_add_u32_e32 v12, -1, v12
	v_cmp_eq_u64_e32 vcc, v[16:17], v[34:35]
	v_cndmask_b32_e32 v12, 0, v12, vcc
	v_add_u32_e32 v12, v12, v4
	v_and_b32_e32 v12, 0xfffff, v12
	v_add_co_u32_e32 v4, vcc, v12, v4
	v_add_u32_e32 v7, 6, v14
	v_addc_co_u32_e32 v5, vcc, 0, v5, vcc
	v_cmp_ne_u32_e32 vcc, 0, v7
                                        ; implicit-def: $vgpr12
	s_and_saveexec_b64 s[0:1], vcc
	s_xor_b64 s[0:1], exec, s[0:1]
; %bb.30:
	s_mov_b64 s[18:19], 0xffffff
	v_add_u32_e32 v12, 7, v14
	v_cmp_lt_u64_e32 vcc, s[18:19], v[4:5]
	v_cndmask_b32_e32 v12, v7, v12, vcc
	v_cndmask_b32_e64 v7, 0, 1, vcc
	v_lshrrev_b64 v[4:5], v7, v[4:5]
; %bb.31:
	s_andn2_saveexec_b64 s[0:1], s[0:1]
; %bb.32:
	v_bfe_u32 v12, v4, 23, 1
; %bb.33:
	s_or_b64 exec, exec, s[0:1]
	v_lshrrev_b64 v[4:5], 20, v[4:5]
	v_cmp_gt_i32_e32 vcc, 16, v12
	v_cndmask_b32_e32 v5, 0, v5, vcc
	v_cndmask_b32_e32 v4, 7, v4, vcc
	v_cmp_ne_u32_e32 vcc, 0, v12
	v_cmp_ne_u64_e64 s[0:1], 0, v[4:5]
	s_or_b64 s[0:1], vcc, s[0:1]
                                        ; implicit-def: $vgpr7
	s_and_saveexec_b64 s[18:19], s[0:1]
	s_xor_b64 s[0:1], exec, s[18:19]
; %bb.34:
	v_min_i32_e32 v5, 15, v12
	v_lshl_or_b32 v5, v5, 3, v10
	v_and_or_b32 v7, v4, 7, v5
                                        ; implicit-def: $vgpr10
; %bb.35:
	s_andn2_saveexec_b64 s[0:1], s[0:1]
; %bb.36:
	v_mov_b32_e32 v7, v10
; %bb.37:
	s_or_b64 exec, exec, s[0:1]
.LBB3_38:
	s_or_b64 exec, exec, s[16:17]
.LBB3_39:
	s_andn2_saveexec_b64 s[0:1], s[14:15]
	s_or_b64 exec, exec, s[0:1]
                                        ; implicit-def: $vgpr12
                                        ; implicit-def: $vgpr4_vgpr5
.LBB3_40:
	s_andn2_saveexec_b64 s[0:1], s[8:9]
; %bb.41:
	s_movk_i32 s8, 0x7f
	v_or_b32_sdwa v10, v12, s8 dst_sel:DWORD dst_unused:UNUSED_PAD src0_sel:BYTE_3 src1_sel:DWORD
	v_cmp_eq_u64_e32 vcc, 0, v[4:5]
	v_cndmask_b32_e32 v7, v10, v7, vcc
; %bb.42:
	s_or_b64 exec, exec, s[0:1]
	v_mul_f32_e32 v4, v9, v32
	v_max_f32_e32 v4, 0xc3e00000, v4
	v_min_f32_e32 v14, 0x43e00000, v4
	v_mov_b32_e32 v5, 0
	s_movk_i32 s0, 0x80
	v_and_b32_sdwa v12, v14, s0 dst_sel:DWORD dst_unused:UNUSED_PAD src0_sel:BYTE_3 src1_sel:DWORD
	v_and_b32_e32 v16, 0x7f800000, v14
	v_mov_b32_e32 v17, v5
	s_mov_b64 s[0:1], 0x7f800000
	v_and_b32_e32 v4, 0x7fffff, v14
	v_or_b32_e32 v10, 0x7e, v12
	v_cmp_ne_u64_e32 vcc, s[0:1], v[16:17]
	s_and_saveexec_b64 s[0:1], vcc
	s_xor_b64 s[8:9], exec, s[0:1]
	s_cbranch_execz .LBB3_56
; %bb.43:
	v_and_b32_e32 v16, 0x7fffffff, v14
	v_mov_b32_e32 v17, v5
	s_mov_b64 s[0:1], 0x43e00001
	v_cmp_gt_u64_e32 vcc, s[0:1], v[16:17]
	s_and_saveexec_b64 s[0:1], vcc
	s_xor_b64 s[14:15], exec, s[0:1]
	s_cbranch_execz .LBB3_55
; %bb.44:
	v_cmp_ne_u32_e32 vcc, 0, v14
	v_mov_b32_e32 v10, 0
	s_and_saveexec_b64 s[16:17], vcc
	s_cbranch_execz .LBB3_54
; %bb.45:
	v_bfe_u32 v10, v14, 23, 8
	s_movk_i32 s0, 0x7a
	v_sub_u32_e32 v16, 0x79, v10
	v_cmp_gt_u32_e32 vcc, s0, v10
	v_add_u32_e32 v14, 0xffffff81, v10
	v_cndmask_b32_e32 v16, 0, v16, vcc
	v_mov_b32_e32 v32, 0xffffff82
	v_cmp_eq_u32_e32 vcc, 0, v10
	v_cndmask_b32_e32 v10, v14, v32, vcc
	v_mov_b32_e32 v14, 0x78
	v_cndmask_b32_e32 v14, v16, v14, vcc
	v_or_b32_e32 v17, 0x800000, v4
	v_add_u32_e32 v16, 20, v14
	v_cndmask_b32_e32 v4, v17, v4, vcc
	v_lshlrev_b64 v[16:17], v16, -1
	v_not_b32_e32 v16, v16
	v_and_b32_e32 v32, v4, v16
	v_add_u32_e32 v16, 19, v14
	v_lshrrev_b64 v[4:5], v14, v[4:5]
	v_not_b32_e32 v17, v17
	v_lshlrev_b64 v[34:35], v16, 1
	v_lshrrev_b32_e32 v16, 23, v4
	v_and_b32_e32 v33, 0, v17
	v_add3_u32 v16, v14, v10, v16
	v_bfe_u32 v14, v4, 20, 1
	v_add_u32_e32 v14, -1, v14
	v_cmp_eq_u64_e32 vcc, v[32:33], v[34:35]
	v_cndmask_b32_e32 v14, 0, v14, vcc
	v_add_u32_e32 v14, v14, v4
	v_and_b32_e32 v14, 0xfffff, v14
	v_add_co_u32_e32 v4, vcc, v14, v4
	v_add_u32_e32 v10, 6, v16
	v_addc_co_u32_e32 v5, vcc, 0, v5, vcc
	v_cmp_ne_u32_e32 vcc, 0, v10
                                        ; implicit-def: $vgpr14
	s_and_saveexec_b64 s[0:1], vcc
	s_xor_b64 s[0:1], exec, s[0:1]
; %bb.46:
	s_mov_b64 s[18:19], 0xffffff
	v_add_u32_e32 v14, 7, v16
	v_cmp_lt_u64_e32 vcc, s[18:19], v[4:5]
	v_cndmask_b32_e32 v14, v10, v14, vcc
	v_cndmask_b32_e64 v10, 0, 1, vcc
	v_lshrrev_b64 v[4:5], v10, v[4:5]
; %bb.47:
	s_andn2_saveexec_b64 s[0:1], s[0:1]
; %bb.48:
	v_bfe_u32 v14, v4, 23, 1
; %bb.49:
	s_or_b64 exec, exec, s[0:1]
	v_lshrrev_b64 v[4:5], 20, v[4:5]
	v_cmp_gt_i32_e32 vcc, 16, v14
	v_cndmask_b32_e32 v5, 0, v5, vcc
	v_cndmask_b32_e32 v4, 7, v4, vcc
	v_cmp_ne_u32_e32 vcc, 0, v14
	v_cmp_ne_u64_e64 s[0:1], 0, v[4:5]
	s_or_b64 s[0:1], vcc, s[0:1]
                                        ; implicit-def: $vgpr10
	s_and_saveexec_b64 s[18:19], s[0:1]
	s_xor_b64 s[0:1], exec, s[18:19]
; %bb.50:
	v_min_i32_e32 v5, 15, v14
	v_lshl_or_b32 v5, v5, 3, v12
	v_and_or_b32 v10, v4, 7, v5
                                        ; implicit-def: $vgpr12
; %bb.51:
	s_andn2_saveexec_b64 s[0:1], s[0:1]
; %bb.52:
	v_mov_b32_e32 v10, v12
; %bb.53:
	s_or_b64 exec, exec, s[0:1]
.LBB3_54:
	s_or_b64 exec, exec, s[16:17]
.LBB3_55:
	s_andn2_saveexec_b64 s[0:1], s[14:15]
	s_or_b64 exec, exec, s[0:1]
                                        ; implicit-def: $vgpr14
                                        ; implicit-def: $vgpr4_vgpr5
.LBB3_56:
	s_andn2_saveexec_b64 s[0:1], s[8:9]
; %bb.57:
	s_movk_i32 s8, 0x7f
	v_or_b32_sdwa v12, v14, s8 dst_sel:DWORD dst_unused:UNUSED_PAD src0_sel:BYTE_3 src1_sel:DWORD
	v_cmp_eq_u64_e32 vcc, 0, v[4:5]
	v_cndmask_b32_e32 v10, v12, v10, vcc
; %bb.58:
	s_or_b64 exec, exec, s[0:1]
	v_mul_f32_e32 v4, v9, v31
	v_max_f32_e32 v4, 0xc3e00000, v4
	v_min_f32_e32 v16, 0x43e00000, v4
	v_mov_b32_e32 v5, 0
	s_movk_i32 s0, 0x80
	v_and_b32_sdwa v14, v16, s0 dst_sel:DWORD dst_unused:UNUSED_PAD src0_sel:BYTE_3 src1_sel:DWORD
	v_and_b32_e32 v32, 0x7f800000, v16
	v_mov_b32_e32 v33, v5
	s_mov_b64 s[0:1], 0x7f800000
	v_and_b32_e32 v4, 0x7fffff, v16
	v_or_b32_e32 v12, 0x7e, v14
	v_cmp_ne_u64_e32 vcc, s[0:1], v[32:33]
	s_and_saveexec_b64 s[0:1], vcc
	s_xor_b64 s[8:9], exec, s[0:1]
	s_cbranch_execz .LBB3_72
; %bb.59:
	v_and_b32_e32 v32, 0x7fffffff, v16
	v_mov_b32_e32 v33, v5
	s_mov_b64 s[0:1], 0x43e00001
	v_cmp_gt_u64_e32 vcc, s[0:1], v[32:33]
	s_and_saveexec_b64 s[0:1], vcc
	s_xor_b64 s[14:15], exec, s[0:1]
	s_cbranch_execz .LBB3_71
; %bb.60:
	v_cmp_ne_u32_e32 vcc, 0, v16
	v_mov_b32_e32 v12, 0
	s_and_saveexec_b64 s[16:17], vcc
	s_cbranch_execz .LBB3_70
; %bb.61:
	v_bfe_u32 v12, v16, 23, 8
	s_movk_i32 s0, 0x7a
	v_sub_u32_e32 v17, 0x79, v12
	v_cmp_gt_u32_e32 vcc, s0, v12
	v_add_u32_e32 v16, 0xffffff81, v12
	v_cndmask_b32_e32 v17, 0, v17, vcc
	v_mov_b32_e32 v32, 0xffffff82
	v_cmp_eq_u32_e32 vcc, 0, v12
	v_cndmask_b32_e32 v12, v16, v32, vcc
	v_mov_b32_e32 v16, 0x78
	v_cndmask_b32_e32 v36, v17, v16, vcc
	v_add_u32_e32 v16, 20, v36
	v_or_b32_e32 v31, 0x800000, v4
	v_lshlrev_b64 v[16:17], v16, -1
	v_cndmask_b32_e32 v4, v31, v4, vcc
	v_not_b32_e32 v16, v16
	v_and_b32_e32 v32, v4, v16
	v_add_u32_e32 v16, 19, v36
	v_lshrrev_b64 v[4:5], v36, v[4:5]
	v_not_b32_e32 v17, v17
	v_lshlrev_b64 v[34:35], v16, 1
	v_lshrrev_b32_e32 v16, 23, v4
	v_and_b32_e32 v33, 0, v17
	v_add3_u32 v17, v36, v12, v16
	v_bfe_u32 v16, v4, 20, 1
	v_add_u32_e32 v16, -1, v16
	v_cmp_eq_u64_e32 vcc, v[32:33], v[34:35]
	v_cndmask_b32_e32 v16, 0, v16, vcc
	v_add_u32_e32 v16, v16, v4
	v_and_b32_e32 v16, 0xfffff, v16
	v_add_co_u32_e32 v4, vcc, v16, v4
	v_add_u32_e32 v12, 6, v17
	v_addc_co_u32_e32 v5, vcc, 0, v5, vcc
	v_cmp_ne_u32_e32 vcc, 0, v12
                                        ; implicit-def: $vgpr16
	s_and_saveexec_b64 s[0:1], vcc
	s_xor_b64 s[0:1], exec, s[0:1]
; %bb.62:
	s_mov_b64 s[18:19], 0xffffff
	v_add_u32_e32 v16, 7, v17
	v_cmp_lt_u64_e32 vcc, s[18:19], v[4:5]
	v_cndmask_b32_e32 v16, v12, v16, vcc
	v_cndmask_b32_e64 v12, 0, 1, vcc
	v_lshrrev_b64 v[4:5], v12, v[4:5]
; %bb.63:
	s_andn2_saveexec_b64 s[0:1], s[0:1]
; %bb.64:
	v_bfe_u32 v16, v4, 23, 1
; %bb.65:
	s_or_b64 exec, exec, s[0:1]
	v_lshrrev_b64 v[4:5], 20, v[4:5]
	v_cmp_gt_i32_e32 vcc, 16, v16
	v_cndmask_b32_e32 v5, 0, v5, vcc
	v_cndmask_b32_e32 v4, 7, v4, vcc
	v_cmp_ne_u32_e32 vcc, 0, v16
	v_cmp_ne_u64_e64 s[0:1], 0, v[4:5]
	s_or_b64 s[0:1], vcc, s[0:1]
                                        ; implicit-def: $vgpr12
	s_and_saveexec_b64 s[18:19], s[0:1]
	s_xor_b64 s[0:1], exec, s[18:19]
; %bb.66:
	v_min_i32_e32 v5, 15, v16
	v_lshl_or_b32 v5, v5, 3, v14
	v_and_or_b32 v12, v4, 7, v5
                                        ; implicit-def: $vgpr14
; %bb.67:
	s_andn2_saveexec_b64 s[0:1], s[0:1]
; %bb.68:
	v_mov_b32_e32 v12, v14
; %bb.69:
	s_or_b64 exec, exec, s[0:1]
.LBB3_70:
	s_or_b64 exec, exec, s[16:17]
.LBB3_71:
	s_andn2_saveexec_b64 s[0:1], s[14:15]
	s_or_b64 exec, exec, s[0:1]
                                        ; implicit-def: $vgpr16
                                        ; implicit-def: $vgpr4_vgpr5
.LBB3_72:
	s_andn2_saveexec_b64 s[0:1], s[8:9]
; %bb.73:
	s_movk_i32 s8, 0x7f
	v_or_b32_sdwa v14, v16, s8 dst_sel:DWORD dst_unused:UNUSED_PAD src0_sel:BYTE_3 src1_sel:DWORD
	v_cmp_eq_u64_e32 vcc, 0, v[4:5]
	v_cndmask_b32_e32 v12, v14, v12, vcc
; %bb.74:
	s_or_b64 exec, exec, s[0:1]
	v_mul_f32_e32 v4, v9, v30
	v_max_f32_e32 v4, 0xc3e00000, v4
	v_min_f32_e32 v17, 0x43e00000, v4
	v_mov_b32_e32 v5, 0
	s_movk_i32 s0, 0x80
	v_and_b32_sdwa v16, v17, s0 dst_sel:DWORD dst_unused:UNUSED_PAD src0_sel:BYTE_3 src1_sel:DWORD
	v_and_b32_e32 v30, 0x7f800000, v17
	v_mov_b32_e32 v31, v5
	s_mov_b64 s[0:1], 0x7f800000
	v_and_b32_e32 v4, 0x7fffff, v17
	v_or_b32_e32 v14, 0x7e, v16
	v_cmp_ne_u64_e32 vcc, s[0:1], v[30:31]
	s_and_saveexec_b64 s[0:1], vcc
	s_xor_b64 s[8:9], exec, s[0:1]
	s_cbranch_execz .LBB3_88
; %bb.75:
	v_and_b32_e32 v30, 0x7fffffff, v17
	v_mov_b32_e32 v31, v5
	s_mov_b64 s[0:1], 0x43e00001
	v_cmp_gt_u64_e32 vcc, s[0:1], v[30:31]
	s_and_saveexec_b64 s[0:1], vcc
	s_xor_b64 s[14:15], exec, s[0:1]
	s_cbranch_execz .LBB3_87
; %bb.76:
	v_cmp_ne_u32_e32 vcc, 0, v17
	v_mov_b32_e32 v14, 0
	s_and_saveexec_b64 s[16:17], vcc
	s_cbranch_execz .LBB3_86
; %bb.77:
	v_bfe_u32 v14, v17, 23, 8
	s_movk_i32 s0, 0x7a
	v_sub_u32_e32 v30, 0x79, v14
	v_cmp_gt_u32_e32 vcc, s0, v14
	v_add_u32_e32 v17, 0xffffff81, v14
	v_cndmask_b32_e32 v30, 0, v30, vcc
	v_mov_b32_e32 v32, 0xffffff82
	v_cmp_eq_u32_e32 vcc, 0, v14
	v_cndmask_b32_e32 v14, v17, v32, vcc
	v_mov_b32_e32 v17, 0x78
	v_cndmask_b32_e32 v17, v30, v17, vcc
	v_or_b32_e32 v31, 0x800000, v4
	v_add_u32_e32 v30, 20, v17
	v_cndmask_b32_e32 v4, v31, v4, vcc
	v_lshlrev_b64 v[30:31], v30, -1
	v_not_b32_e32 v30, v30
	v_and_b32_e32 v32, v4, v30
	v_add_u32_e32 v30, 19, v17
	v_lshrrev_b64 v[4:5], v17, v[4:5]
	v_not_b32_e32 v31, v31
	v_lshlrev_b64 v[34:35], v30, 1
	v_lshrrev_b32_e32 v30, 23, v4
	v_and_b32_e32 v33, 0, v31
	v_add3_u32 v30, v17, v14, v30
	v_bfe_u32 v17, v4, 20, 1
	v_add_u32_e32 v17, -1, v17
	v_cmp_eq_u64_e32 vcc, v[32:33], v[34:35]
	v_cndmask_b32_e32 v17, 0, v17, vcc
	v_add_u32_e32 v17, v17, v4
	v_and_b32_e32 v17, 0xfffff, v17
	v_add_co_u32_e32 v4, vcc, v17, v4
	v_add_u32_e32 v14, 6, v30
	v_addc_co_u32_e32 v5, vcc, 0, v5, vcc
	v_cmp_ne_u32_e32 vcc, 0, v14
                                        ; implicit-def: $vgpr17
	s_and_saveexec_b64 s[0:1], vcc
	s_xor_b64 s[0:1], exec, s[0:1]
; %bb.78:
	s_mov_b64 s[18:19], 0xffffff
	v_add_u32_e32 v17, 7, v30
	v_cmp_lt_u64_e32 vcc, s[18:19], v[4:5]
	v_cndmask_b32_e32 v17, v14, v17, vcc
	v_cndmask_b32_e64 v14, 0, 1, vcc
	v_lshrrev_b64 v[4:5], v14, v[4:5]
; %bb.79:
	s_andn2_saveexec_b64 s[0:1], s[0:1]
; %bb.80:
	v_bfe_u32 v17, v4, 23, 1
; %bb.81:
	s_or_b64 exec, exec, s[0:1]
	v_lshrrev_b64 v[4:5], 20, v[4:5]
	v_cmp_gt_i32_e32 vcc, 16, v17
	v_cndmask_b32_e32 v5, 0, v5, vcc
	v_cndmask_b32_e32 v4, 7, v4, vcc
	v_cmp_ne_u32_e32 vcc, 0, v17
	v_cmp_ne_u64_e64 s[0:1], 0, v[4:5]
	s_or_b64 s[0:1], vcc, s[0:1]
                                        ; implicit-def: $vgpr14
	s_and_saveexec_b64 s[18:19], s[0:1]
	s_xor_b64 s[0:1], exec, s[18:19]
; %bb.82:
	v_min_i32_e32 v5, 15, v17
	v_lshl_or_b32 v5, v5, 3, v16
	v_and_or_b32 v14, v4, 7, v5
                                        ; implicit-def: $vgpr16
; %bb.83:
	s_andn2_saveexec_b64 s[0:1], s[0:1]
; %bb.84:
	v_mov_b32_e32 v14, v16
; %bb.85:
	s_or_b64 exec, exec, s[0:1]
.LBB3_86:
	s_or_b64 exec, exec, s[16:17]
.LBB3_87:
	s_andn2_saveexec_b64 s[0:1], s[14:15]
	s_or_b64 exec, exec, s[0:1]
                                        ; implicit-def: $vgpr17
                                        ; implicit-def: $vgpr4_vgpr5
.LBB3_88:
	s_andn2_saveexec_b64 s[0:1], s[8:9]
; %bb.89:
	s_movk_i32 s8, 0x7f
	v_or_b32_sdwa v16, v17, s8 dst_sel:DWORD dst_unused:UNUSED_PAD src0_sel:BYTE_3 src1_sel:DWORD
	v_cmp_eq_u64_e32 vcc, 0, v[4:5]
	v_cndmask_b32_e32 v14, v16, v14, vcc
; %bb.90:
	s_or_b64 exec, exec, s[0:1]
	v_mul_f32_e32 v4, v9, v29
	v_max_f32_e32 v4, 0xc3e00000, v4
	v_min_f32_e32 v29, 0x43e00000, v4
	v_mov_b32_e32 v5, 0
	s_movk_i32 s0, 0x80
	v_and_b32_sdwa v17, v29, s0 dst_sel:DWORD dst_unused:UNUSED_PAD src0_sel:BYTE_3 src1_sel:DWORD
	v_and_b32_e32 v30, 0x7f800000, v29
	v_mov_b32_e32 v31, v5
	s_mov_b64 s[0:1], 0x7f800000
	v_and_b32_e32 v4, 0x7fffff, v29
	v_or_b32_e32 v16, 0x7e, v17
	v_cmp_ne_u64_e32 vcc, s[0:1], v[30:31]
	s_and_saveexec_b64 s[0:1], vcc
	s_xor_b64 s[8:9], exec, s[0:1]
	s_cbranch_execz .LBB3_104
; %bb.91:
	v_and_b32_e32 v30, 0x7fffffff, v29
	v_mov_b32_e32 v31, v5
	s_mov_b64 s[0:1], 0x43e00001
	v_cmp_gt_u64_e32 vcc, s[0:1], v[30:31]
	s_and_saveexec_b64 s[0:1], vcc
	s_xor_b64 s[14:15], exec, s[0:1]
	s_cbranch_execz .LBB3_103
; %bb.92:
	v_cmp_ne_u32_e32 vcc, 0, v29
	v_mov_b32_e32 v16, 0
	s_and_saveexec_b64 s[16:17], vcc
	s_cbranch_execz .LBB3_102
; %bb.93:
	v_bfe_u32 v16, v29, 23, 8
	s_movk_i32 s0, 0x7a
	v_sub_u32_e32 v30, 0x79, v16
	v_cmp_gt_u32_e32 vcc, s0, v16
	v_add_u32_e32 v29, 0xffffff81, v16
	v_cndmask_b32_e32 v30, 0, v30, vcc
	v_mov_b32_e32 v32, 0xffffff82
	v_cmp_eq_u32_e32 vcc, 0, v16
	v_cndmask_b32_e32 v16, v29, v32, vcc
	v_mov_b32_e32 v29, 0x78
	v_cndmask_b32_e32 v29, v30, v29, vcc
	v_or_b32_e32 v31, 0x800000, v4
	v_add_u32_e32 v30, 20, v29
	v_cndmask_b32_e32 v4, v31, v4, vcc
	v_lshlrev_b64 v[30:31], v30, -1
	v_not_b32_e32 v30, v30
	v_and_b32_e32 v32, v4, v30
	v_add_u32_e32 v30, 19, v29
	v_lshrrev_b64 v[4:5], v29, v[4:5]
	v_not_b32_e32 v31, v31
	v_lshlrev_b64 v[34:35], v30, 1
	v_lshrrev_b32_e32 v30, 23, v4
	v_and_b32_e32 v33, 0, v31
	v_add3_u32 v30, v29, v16, v30
	v_bfe_u32 v29, v4, 20, 1
	v_add_u32_e32 v29, -1, v29
	v_cmp_eq_u64_e32 vcc, v[32:33], v[34:35]
	v_cndmask_b32_e32 v29, 0, v29, vcc
	v_add_u32_e32 v29, v29, v4
	v_and_b32_e32 v29, 0xfffff, v29
	v_add_co_u32_e32 v4, vcc, v29, v4
	v_add_u32_e32 v16, 6, v30
	v_addc_co_u32_e32 v5, vcc, 0, v5, vcc
	v_cmp_ne_u32_e32 vcc, 0, v16
                                        ; implicit-def: $vgpr29
	s_and_saveexec_b64 s[0:1], vcc
	s_xor_b64 s[0:1], exec, s[0:1]
; %bb.94:
	s_mov_b64 s[18:19], 0xffffff
	v_add_u32_e32 v29, 7, v30
	v_cmp_lt_u64_e32 vcc, s[18:19], v[4:5]
	v_cndmask_b32_e32 v29, v16, v29, vcc
	v_cndmask_b32_e64 v16, 0, 1, vcc
	v_lshrrev_b64 v[4:5], v16, v[4:5]
; %bb.95:
	s_andn2_saveexec_b64 s[0:1], s[0:1]
; %bb.96:
	v_bfe_u32 v29, v4, 23, 1
; %bb.97:
	s_or_b64 exec, exec, s[0:1]
	v_lshrrev_b64 v[4:5], 20, v[4:5]
	v_cmp_gt_i32_e32 vcc, 16, v29
	v_cndmask_b32_e32 v5, 0, v5, vcc
	v_cndmask_b32_e32 v4, 7, v4, vcc
	v_cmp_ne_u32_e32 vcc, 0, v29
	v_cmp_ne_u64_e64 s[0:1], 0, v[4:5]
	s_or_b64 s[0:1], vcc, s[0:1]
                                        ; implicit-def: $vgpr16
	s_and_saveexec_b64 s[18:19], s[0:1]
	s_xor_b64 s[0:1], exec, s[18:19]
; %bb.98:
	v_min_i32_e32 v5, 15, v29
	v_lshl_or_b32 v5, v5, 3, v17
	v_and_or_b32 v16, v4, 7, v5
                                        ; implicit-def: $vgpr17
; %bb.99:
	s_andn2_saveexec_b64 s[0:1], s[0:1]
; %bb.100:
	v_mov_b32_e32 v16, v17
; %bb.101:
	s_or_b64 exec, exec, s[0:1]
.LBB3_102:
	s_or_b64 exec, exec, s[16:17]
.LBB3_103:
	s_andn2_saveexec_b64 s[0:1], s[14:15]
	s_or_b64 exec, exec, s[0:1]
                                        ; implicit-def: $vgpr29
                                        ; implicit-def: $vgpr4_vgpr5
.LBB3_104:
	s_andn2_saveexec_b64 s[0:1], s[8:9]
; %bb.105:
	s_movk_i32 s8, 0x7f
	v_or_b32_sdwa v17, v29, s8 dst_sel:DWORD dst_unused:UNUSED_PAD src0_sel:BYTE_3 src1_sel:DWORD
	v_cmp_eq_u64_e32 vcc, 0, v[4:5]
	v_cndmask_b32_e32 v16, v17, v16, vcc
; %bb.106:
	s_or_b64 exec, exec, s[0:1]
	v_mul_f32_e32 v4, v9, v28
	v_max_f32_e32 v4, 0xc3e00000, v4
	v_min_f32_e32 v29, 0x43e00000, v4
	v_mov_b32_e32 v5, 0
	s_movk_i32 s0, 0x80
	v_and_b32_sdwa v28, v29, s0 dst_sel:DWORD dst_unused:UNUSED_PAD src0_sel:BYTE_3 src1_sel:DWORD
	v_and_b32_e32 v30, 0x7f800000, v29
	v_mov_b32_e32 v31, v5
	s_mov_b64 s[0:1], 0x7f800000
	v_and_b32_e32 v4, 0x7fffff, v29
	v_or_b32_e32 v17, 0x7e, v28
	v_cmp_ne_u64_e32 vcc, s[0:1], v[30:31]
	s_and_saveexec_b64 s[0:1], vcc
	s_xor_b64 s[8:9], exec, s[0:1]
	s_cbranch_execz .LBB3_120
; %bb.107:
	v_and_b32_e32 v30, 0x7fffffff, v29
	v_mov_b32_e32 v31, v5
	s_mov_b64 s[0:1], 0x43e00001
	v_cmp_gt_u64_e32 vcc, s[0:1], v[30:31]
	s_and_saveexec_b64 s[0:1], vcc
	s_xor_b64 s[14:15], exec, s[0:1]
	s_cbranch_execz .LBB3_119
; %bb.108:
	v_cmp_ne_u32_e32 vcc, 0, v29
	v_mov_b32_e32 v17, 0
	s_and_saveexec_b64 s[16:17], vcc
	s_cbranch_execz .LBB3_118
; %bb.109:
	v_bfe_u32 v17, v29, 23, 8
	s_movk_i32 s0, 0x7a
	v_sub_u32_e32 v30, 0x79, v17
	v_cmp_gt_u32_e32 vcc, s0, v17
	v_add_u32_e32 v29, 0xffffff81, v17
	v_cndmask_b32_e32 v30, 0, v30, vcc
	v_mov_b32_e32 v32, 0xffffff82
	v_cmp_eq_u32_e32 vcc, 0, v17
	v_cndmask_b32_e32 v17, v29, v32, vcc
	v_mov_b32_e32 v29, 0x78
	v_cndmask_b32_e32 v29, v30, v29, vcc
	v_or_b32_e32 v31, 0x800000, v4
	v_add_u32_e32 v30, 20, v29
	v_cndmask_b32_e32 v4, v31, v4, vcc
	v_lshlrev_b64 v[30:31], v30, -1
	v_not_b32_e32 v30, v30
	v_and_b32_e32 v32, v4, v30
	v_add_u32_e32 v30, 19, v29
	v_lshrrev_b64 v[4:5], v29, v[4:5]
	v_not_b32_e32 v31, v31
	v_lshlrev_b64 v[34:35], v30, 1
	v_lshrrev_b32_e32 v30, 23, v4
	v_and_b32_e32 v33, 0, v31
	v_add3_u32 v30, v29, v17, v30
	v_bfe_u32 v29, v4, 20, 1
	v_add_u32_e32 v29, -1, v29
	v_cmp_eq_u64_e32 vcc, v[32:33], v[34:35]
	v_cndmask_b32_e32 v29, 0, v29, vcc
	v_add_u32_e32 v29, v29, v4
	v_and_b32_e32 v29, 0xfffff, v29
	v_add_co_u32_e32 v4, vcc, v29, v4
	v_add_u32_e32 v17, 6, v30
	v_addc_co_u32_e32 v5, vcc, 0, v5, vcc
	v_cmp_ne_u32_e32 vcc, 0, v17
                                        ; implicit-def: $vgpr29
	s_and_saveexec_b64 s[0:1], vcc
	s_xor_b64 s[0:1], exec, s[0:1]
; %bb.110:
	s_mov_b64 s[18:19], 0xffffff
	v_add_u32_e32 v29, 7, v30
	v_cmp_lt_u64_e32 vcc, s[18:19], v[4:5]
	v_cndmask_b32_e32 v29, v17, v29, vcc
	v_cndmask_b32_e64 v17, 0, 1, vcc
	v_lshrrev_b64 v[4:5], v17, v[4:5]
; %bb.111:
	s_andn2_saveexec_b64 s[0:1], s[0:1]
; %bb.112:
	v_bfe_u32 v29, v4, 23, 1
; %bb.113:
	s_or_b64 exec, exec, s[0:1]
	v_lshrrev_b64 v[4:5], 20, v[4:5]
	v_cmp_gt_i32_e32 vcc, 16, v29
	v_cndmask_b32_e32 v5, 0, v5, vcc
	v_cndmask_b32_e32 v4, 7, v4, vcc
	v_cmp_ne_u32_e32 vcc, 0, v29
	v_cmp_ne_u64_e64 s[0:1], 0, v[4:5]
	s_or_b64 s[0:1], vcc, s[0:1]
                                        ; implicit-def: $vgpr17
	s_and_saveexec_b64 s[18:19], s[0:1]
	s_xor_b64 s[0:1], exec, s[18:19]
; %bb.114:
	v_min_i32_e32 v5, 15, v29
	v_lshl_or_b32 v5, v5, 3, v28
	v_and_or_b32 v17, v4, 7, v5
                                        ; implicit-def: $vgpr28
; %bb.115:
	s_andn2_saveexec_b64 s[0:1], s[0:1]
; %bb.116:
	v_mov_b32_e32 v17, v28
; %bb.117:
	s_or_b64 exec, exec, s[0:1]
.LBB3_118:
	s_or_b64 exec, exec, s[16:17]
.LBB3_119:
	s_andn2_saveexec_b64 s[0:1], s[14:15]
	s_or_b64 exec, exec, s[0:1]
                                        ; implicit-def: $vgpr29
                                        ; implicit-def: $vgpr4_vgpr5
.LBB3_120:
	s_andn2_saveexec_b64 s[0:1], s[8:9]
; %bb.121:
	s_movk_i32 s8, 0x7f
	v_or_b32_sdwa v28, v29, s8 dst_sel:DWORD dst_unused:UNUSED_PAD src0_sel:BYTE_3 src1_sel:DWORD
	v_cmp_eq_u64_e32 vcc, 0, v[4:5]
	v_cndmask_b32_e32 v17, v28, v17, vcc
; %bb.122:
	s_or_b64 exec, exec, s[0:1]
	v_mul_f32_e32 v4, v9, v24
	v_max_f32_e32 v4, 0xc3e00000, v4
	v_min_f32_e32 v29, 0x43e00000, v4
	v_mov_b32_e32 v5, 0
	s_movk_i32 s0, 0x80
	v_and_b32_sdwa v28, v29, s0 dst_sel:DWORD dst_unused:UNUSED_PAD src0_sel:BYTE_3 src1_sel:DWORD
	v_and_b32_e32 v30, 0x7f800000, v29
	v_mov_b32_e32 v31, v5
	s_mov_b64 s[0:1], 0x7f800000
	v_and_b32_e32 v4, 0x7fffff, v29
	v_or_b32_e32 v24, 0x7e, v28
	v_cmp_ne_u64_e32 vcc, s[0:1], v[30:31]
	s_and_saveexec_b64 s[0:1], vcc
	s_xor_b64 s[8:9], exec, s[0:1]
	s_cbranch_execz .LBB3_136
; %bb.123:
	v_and_b32_e32 v30, 0x7fffffff, v29
	v_mov_b32_e32 v31, v5
	s_mov_b64 s[0:1], 0x43e00001
	v_cmp_gt_u64_e32 vcc, s[0:1], v[30:31]
	s_and_saveexec_b64 s[0:1], vcc
	s_xor_b64 s[14:15], exec, s[0:1]
	s_cbranch_execz .LBB3_135
; %bb.124:
	v_cmp_ne_u32_e32 vcc, 0, v29
	v_mov_b32_e32 v24, 0
	s_and_saveexec_b64 s[16:17], vcc
	s_cbranch_execz .LBB3_134
; %bb.125:
	v_bfe_u32 v24, v29, 23, 8
	s_movk_i32 s0, 0x7a
	v_sub_u32_e32 v30, 0x79, v24
	v_cmp_gt_u32_e32 vcc, s0, v24
	v_add_u32_e32 v29, 0xffffff81, v24
	v_cndmask_b32_e32 v30, 0, v30, vcc
	v_mov_b32_e32 v32, 0xffffff82
	v_cmp_eq_u32_e32 vcc, 0, v24
	v_cndmask_b32_e32 v24, v29, v32, vcc
	v_mov_b32_e32 v29, 0x78
	v_cndmask_b32_e32 v29, v30, v29, vcc
	v_or_b32_e32 v31, 0x800000, v4
	v_add_u32_e32 v30, 20, v29
	v_cndmask_b32_e32 v4, v31, v4, vcc
	v_lshlrev_b64 v[30:31], v30, -1
	v_not_b32_e32 v30, v30
	v_and_b32_e32 v32, v4, v30
	v_add_u32_e32 v30, 19, v29
	v_lshrrev_b64 v[4:5], v29, v[4:5]
	v_not_b32_e32 v31, v31
	v_lshlrev_b64 v[34:35], v30, 1
	v_lshrrev_b32_e32 v30, 23, v4
	v_and_b32_e32 v33, 0, v31
	v_add3_u32 v30, v29, v24, v30
	v_bfe_u32 v29, v4, 20, 1
	v_add_u32_e32 v29, -1, v29
	v_cmp_eq_u64_e32 vcc, v[32:33], v[34:35]
	v_cndmask_b32_e32 v29, 0, v29, vcc
	v_add_u32_e32 v29, v29, v4
	v_and_b32_e32 v29, 0xfffff, v29
	v_add_co_u32_e32 v4, vcc, v29, v4
	v_add_u32_e32 v24, 6, v30
	v_addc_co_u32_e32 v5, vcc, 0, v5, vcc
	v_cmp_ne_u32_e32 vcc, 0, v24
                                        ; implicit-def: $vgpr29
	s_and_saveexec_b64 s[0:1], vcc
	s_xor_b64 s[0:1], exec, s[0:1]
; %bb.126:
	s_mov_b64 s[18:19], 0xffffff
	v_add_u32_e32 v29, 7, v30
	v_cmp_lt_u64_e32 vcc, s[18:19], v[4:5]
	v_cndmask_b32_e32 v29, v24, v29, vcc
	v_cndmask_b32_e64 v24, 0, 1, vcc
	v_lshrrev_b64 v[4:5], v24, v[4:5]
; %bb.127:
	s_andn2_saveexec_b64 s[0:1], s[0:1]
; %bb.128:
	v_bfe_u32 v29, v4, 23, 1
; %bb.129:
	s_or_b64 exec, exec, s[0:1]
	v_lshrrev_b64 v[4:5], 20, v[4:5]
	v_cmp_gt_i32_e32 vcc, 16, v29
	v_cndmask_b32_e32 v5, 0, v5, vcc
	v_cndmask_b32_e32 v4, 7, v4, vcc
	v_cmp_ne_u32_e32 vcc, 0, v29
	v_cmp_ne_u64_e64 s[0:1], 0, v[4:5]
	s_or_b64 s[0:1], vcc, s[0:1]
                                        ; implicit-def: $vgpr24
	s_and_saveexec_b64 s[18:19], s[0:1]
	s_xor_b64 s[0:1], exec, s[18:19]
; %bb.130:
	v_min_i32_e32 v5, 15, v29
	v_lshl_or_b32 v5, v5, 3, v28
	v_and_or_b32 v24, v4, 7, v5
                                        ; implicit-def: $vgpr28
; %bb.131:
	s_andn2_saveexec_b64 s[0:1], s[0:1]
; %bb.132:
	v_mov_b32_e32 v24, v28
; %bb.133:
	s_or_b64 exec, exec, s[0:1]
.LBB3_134:
	s_or_b64 exec, exec, s[16:17]
.LBB3_135:
	s_andn2_saveexec_b64 s[0:1], s[14:15]
	s_or_b64 exec, exec, s[0:1]
                                        ; implicit-def: $vgpr29
                                        ; implicit-def: $vgpr4_vgpr5
.LBB3_136:
	s_andn2_saveexec_b64 s[0:1], s[8:9]
; %bb.137:
	s_movk_i32 s8, 0x7f
	v_or_b32_sdwa v28, v29, s8 dst_sel:DWORD dst_unused:UNUSED_PAD src0_sel:BYTE_3 src1_sel:DWORD
	v_cmp_eq_u64_e32 vcc, 0, v[4:5]
	v_cndmask_b32_e32 v24, v28, v24, vcc
; %bb.138:
	s_or_b64 exec, exec, s[0:1]
	v_mul_f32_e32 v4, v9, v26
	v_max_f32_e32 v4, 0xc3e00000, v4
	v_min_f32_e32 v29, 0x43e00000, v4
	v_mov_b32_e32 v5, 0
	s_movk_i32 s0, 0x80
	v_and_b32_sdwa v28, v29, s0 dst_sel:DWORD dst_unused:UNUSED_PAD src0_sel:BYTE_3 src1_sel:DWORD
	v_and_b32_e32 v30, 0x7f800000, v29
	v_mov_b32_e32 v31, v5
	s_mov_b64 s[0:1], 0x7f800000
	v_and_b32_e32 v4, 0x7fffff, v29
	v_or_b32_e32 v26, 0x7e, v28
	v_cmp_ne_u64_e32 vcc, s[0:1], v[30:31]
	s_and_saveexec_b64 s[0:1], vcc
	s_xor_b64 s[8:9], exec, s[0:1]
	s_cbranch_execz .LBB3_152
; %bb.139:
	v_and_b32_e32 v30, 0x7fffffff, v29
	v_mov_b32_e32 v31, v5
	s_mov_b64 s[0:1], 0x43e00001
	v_cmp_gt_u64_e32 vcc, s[0:1], v[30:31]
	s_and_saveexec_b64 s[0:1], vcc
	s_xor_b64 s[14:15], exec, s[0:1]
	s_cbranch_execz .LBB3_151
; %bb.140:
	v_cmp_ne_u32_e32 vcc, 0, v29
	v_mov_b32_e32 v26, 0
	s_and_saveexec_b64 s[16:17], vcc
	s_cbranch_execz .LBB3_150
; %bb.141:
	v_bfe_u32 v26, v29, 23, 8
	s_movk_i32 s0, 0x7a
	v_sub_u32_e32 v30, 0x79, v26
	v_cmp_gt_u32_e32 vcc, s0, v26
	v_add_u32_e32 v29, 0xffffff81, v26
	v_cndmask_b32_e32 v30, 0, v30, vcc
	v_mov_b32_e32 v32, 0xffffff82
	v_cmp_eq_u32_e32 vcc, 0, v26
	v_cndmask_b32_e32 v26, v29, v32, vcc
	v_mov_b32_e32 v29, 0x78
	v_cndmask_b32_e32 v29, v30, v29, vcc
	v_or_b32_e32 v31, 0x800000, v4
	v_add_u32_e32 v30, 20, v29
	v_cndmask_b32_e32 v4, v31, v4, vcc
	v_lshlrev_b64 v[30:31], v30, -1
	v_not_b32_e32 v30, v30
	v_and_b32_e32 v32, v4, v30
	v_add_u32_e32 v30, 19, v29
	v_lshrrev_b64 v[4:5], v29, v[4:5]
	v_not_b32_e32 v31, v31
	v_lshlrev_b64 v[34:35], v30, 1
	v_lshrrev_b32_e32 v30, 23, v4
	v_and_b32_e32 v33, 0, v31
	v_add3_u32 v30, v29, v26, v30
	v_bfe_u32 v29, v4, 20, 1
	v_add_u32_e32 v29, -1, v29
	v_cmp_eq_u64_e32 vcc, v[32:33], v[34:35]
	v_cndmask_b32_e32 v29, 0, v29, vcc
	v_add_u32_e32 v29, v29, v4
	v_and_b32_e32 v29, 0xfffff, v29
	v_add_co_u32_e32 v4, vcc, v29, v4
	v_add_u32_e32 v26, 6, v30
	v_addc_co_u32_e32 v5, vcc, 0, v5, vcc
	v_cmp_ne_u32_e32 vcc, 0, v26
                                        ; implicit-def: $vgpr29
	s_and_saveexec_b64 s[0:1], vcc
	s_xor_b64 s[0:1], exec, s[0:1]
; %bb.142:
	s_mov_b64 s[18:19], 0xffffff
	v_add_u32_e32 v29, 7, v30
	v_cmp_lt_u64_e32 vcc, s[18:19], v[4:5]
	v_cndmask_b32_e32 v29, v26, v29, vcc
	v_cndmask_b32_e64 v26, 0, 1, vcc
	v_lshrrev_b64 v[4:5], v26, v[4:5]
; %bb.143:
	s_andn2_saveexec_b64 s[0:1], s[0:1]
; %bb.144:
	v_bfe_u32 v29, v4, 23, 1
; %bb.145:
	s_or_b64 exec, exec, s[0:1]
	v_lshrrev_b64 v[4:5], 20, v[4:5]
	v_cmp_gt_i32_e32 vcc, 16, v29
	v_cndmask_b32_e32 v5, 0, v5, vcc
	v_cndmask_b32_e32 v4, 7, v4, vcc
	v_cmp_ne_u32_e32 vcc, 0, v29
	v_cmp_ne_u64_e64 s[0:1], 0, v[4:5]
	s_or_b64 s[0:1], vcc, s[0:1]
                                        ; implicit-def: $vgpr26
	s_and_saveexec_b64 s[18:19], s[0:1]
	s_xor_b64 s[0:1], exec, s[18:19]
; %bb.146:
	v_min_i32_e32 v5, 15, v29
	v_lshl_or_b32 v5, v5, 3, v28
	v_and_or_b32 v26, v4, 7, v5
                                        ; implicit-def: $vgpr28
; %bb.147:
	s_andn2_saveexec_b64 s[0:1], s[0:1]
; %bb.148:
	v_mov_b32_e32 v26, v28
; %bb.149:
	s_or_b64 exec, exec, s[0:1]
.LBB3_150:
	s_or_b64 exec, exec, s[16:17]
.LBB3_151:
	s_andn2_saveexec_b64 s[0:1], s[14:15]
	s_or_b64 exec, exec, s[0:1]
                                        ; implicit-def: $vgpr29
                                        ; implicit-def: $vgpr4_vgpr5
.LBB3_152:
	s_andn2_saveexec_b64 s[0:1], s[8:9]
; %bb.153:
	s_movk_i32 s8, 0x7f
	v_or_b32_sdwa v28, v29, s8 dst_sel:DWORD dst_unused:UNUSED_PAD src0_sel:BYTE_3 src1_sel:DWORD
	v_cmp_eq_u64_e32 vcc, 0, v[4:5]
	v_cndmask_b32_e32 v26, v28, v26, vcc
; %bb.154:
	s_or_b64 exec, exec, s[0:1]
	v_mul_f32_e32 v4, v9, v27
	v_max_f32_e32 v4, 0xc3e00000, v4
	v_min_f32_e32 v29, 0x43e00000, v4
	v_mov_b32_e32 v5, 0
	s_movk_i32 s0, 0x80
	v_and_b32_sdwa v28, v29, s0 dst_sel:DWORD dst_unused:UNUSED_PAD src0_sel:BYTE_3 src1_sel:DWORD
	v_and_b32_e32 v30, 0x7f800000, v29
	v_mov_b32_e32 v31, v5
	s_mov_b64 s[0:1], 0x7f800000
	v_and_b32_e32 v4, 0x7fffff, v29
	v_or_b32_e32 v27, 0x7e, v28
	v_cmp_ne_u64_e32 vcc, s[0:1], v[30:31]
	s_and_saveexec_b64 s[0:1], vcc
	s_xor_b64 s[8:9], exec, s[0:1]
	s_cbranch_execz .LBB3_168
; %bb.155:
	v_and_b32_e32 v30, 0x7fffffff, v29
	v_mov_b32_e32 v31, v5
	s_mov_b64 s[0:1], 0x43e00001
	v_cmp_gt_u64_e32 vcc, s[0:1], v[30:31]
	s_and_saveexec_b64 s[0:1], vcc
	s_xor_b64 s[14:15], exec, s[0:1]
	s_cbranch_execz .LBB3_167
; %bb.156:
	v_cmp_ne_u32_e32 vcc, 0, v29
	v_mov_b32_e32 v27, 0
	s_and_saveexec_b64 s[16:17], vcc
	s_cbranch_execz .LBB3_166
; %bb.157:
	v_bfe_u32 v27, v29, 23, 8
	s_movk_i32 s0, 0x7a
	v_sub_u32_e32 v30, 0x79, v27
	v_cmp_gt_u32_e32 vcc, s0, v27
	v_add_u32_e32 v29, 0xffffff81, v27
	v_cndmask_b32_e32 v30, 0, v30, vcc
	v_mov_b32_e32 v32, 0xffffff82
	v_cmp_eq_u32_e32 vcc, 0, v27
	v_cndmask_b32_e32 v27, v29, v32, vcc
	v_mov_b32_e32 v29, 0x78
	v_cndmask_b32_e32 v29, v30, v29, vcc
	v_or_b32_e32 v31, 0x800000, v4
	v_add_u32_e32 v30, 20, v29
	v_cndmask_b32_e32 v4, v31, v4, vcc
	v_lshlrev_b64 v[30:31], v30, -1
	v_not_b32_e32 v30, v30
	v_and_b32_e32 v32, v4, v30
	v_add_u32_e32 v30, 19, v29
	v_lshrrev_b64 v[4:5], v29, v[4:5]
	v_not_b32_e32 v31, v31
	v_lshlrev_b64 v[34:35], v30, 1
	v_lshrrev_b32_e32 v30, 23, v4
	v_and_b32_e32 v33, 0, v31
	v_add3_u32 v30, v29, v27, v30
	v_bfe_u32 v29, v4, 20, 1
	v_add_u32_e32 v29, -1, v29
	v_cmp_eq_u64_e32 vcc, v[32:33], v[34:35]
	v_cndmask_b32_e32 v29, 0, v29, vcc
	v_add_u32_e32 v29, v29, v4
	v_and_b32_e32 v29, 0xfffff, v29
	v_add_co_u32_e32 v4, vcc, v29, v4
	v_add_u32_e32 v27, 6, v30
	v_addc_co_u32_e32 v5, vcc, 0, v5, vcc
	v_cmp_ne_u32_e32 vcc, 0, v27
                                        ; implicit-def: $vgpr29
	s_and_saveexec_b64 s[0:1], vcc
	s_xor_b64 s[0:1], exec, s[0:1]
; %bb.158:
	s_mov_b64 s[18:19], 0xffffff
	v_add_u32_e32 v29, 7, v30
	v_cmp_lt_u64_e32 vcc, s[18:19], v[4:5]
	v_cndmask_b32_e32 v29, v27, v29, vcc
	v_cndmask_b32_e64 v27, 0, 1, vcc
	v_lshrrev_b64 v[4:5], v27, v[4:5]
; %bb.159:
	s_andn2_saveexec_b64 s[0:1], s[0:1]
; %bb.160:
	v_bfe_u32 v29, v4, 23, 1
; %bb.161:
	s_or_b64 exec, exec, s[0:1]
	v_lshrrev_b64 v[4:5], 20, v[4:5]
	v_cmp_gt_i32_e32 vcc, 16, v29
	v_cndmask_b32_e32 v5, 0, v5, vcc
	v_cndmask_b32_e32 v4, 7, v4, vcc
	v_cmp_ne_u32_e32 vcc, 0, v29
	v_cmp_ne_u64_e64 s[0:1], 0, v[4:5]
	s_or_b64 s[0:1], vcc, s[0:1]
                                        ; implicit-def: $vgpr27
	s_and_saveexec_b64 s[18:19], s[0:1]
	s_xor_b64 s[0:1], exec, s[18:19]
; %bb.162:
	v_min_i32_e32 v5, 15, v29
	v_lshl_or_b32 v5, v5, 3, v28
	v_and_or_b32 v27, v4, 7, v5
                                        ; implicit-def: $vgpr28
; %bb.163:
	s_andn2_saveexec_b64 s[0:1], s[0:1]
; %bb.164:
	v_mov_b32_e32 v27, v28
; %bb.165:
	s_or_b64 exec, exec, s[0:1]
.LBB3_166:
	s_or_b64 exec, exec, s[16:17]
.LBB3_167:
	s_andn2_saveexec_b64 s[0:1], s[14:15]
	s_or_b64 exec, exec, s[0:1]
                                        ; implicit-def: $vgpr29
                                        ; implicit-def: $vgpr4_vgpr5
.LBB3_168:
	s_andn2_saveexec_b64 s[0:1], s[8:9]
; %bb.169:
	s_movk_i32 s8, 0x7f
	v_or_b32_sdwa v28, v29, s8 dst_sel:DWORD dst_unused:UNUSED_PAD src0_sel:BYTE_3 src1_sel:DWORD
	v_cmp_eq_u64_e32 vcc, 0, v[4:5]
	v_cndmask_b32_e32 v27, v28, v27, vcc
; %bb.170:
	s_or_b64 exec, exec, s[0:1]
	v_mul_f32_e32 v4, v9, v25
	v_max_f32_e32 v4, 0xc3e00000, v4
	v_min_f32_e32 v29, 0x43e00000, v4
	v_mov_b32_e32 v5, 0
	s_movk_i32 s0, 0x80
	v_and_b32_sdwa v28, v29, s0 dst_sel:DWORD dst_unused:UNUSED_PAD src0_sel:BYTE_3 src1_sel:DWORD
	v_and_b32_e32 v30, 0x7f800000, v29
	v_mov_b32_e32 v31, v5
	s_mov_b64 s[0:1], 0x7f800000
	v_and_b32_e32 v4, 0x7fffff, v29
	v_or_b32_e32 v25, 0x7e, v28
	v_cmp_ne_u64_e32 vcc, s[0:1], v[30:31]
	s_and_saveexec_b64 s[0:1], vcc
	s_xor_b64 s[8:9], exec, s[0:1]
	s_cbranch_execz .LBB3_184
; %bb.171:
	v_and_b32_e32 v30, 0x7fffffff, v29
	v_mov_b32_e32 v31, v5
	s_mov_b64 s[0:1], 0x43e00001
	v_cmp_gt_u64_e32 vcc, s[0:1], v[30:31]
	s_and_saveexec_b64 s[0:1], vcc
	s_xor_b64 s[14:15], exec, s[0:1]
	s_cbranch_execz .LBB3_183
; %bb.172:
	v_cmp_ne_u32_e32 vcc, 0, v29
	v_mov_b32_e32 v25, 0
	s_and_saveexec_b64 s[16:17], vcc
	s_cbranch_execz .LBB3_182
; %bb.173:
	v_bfe_u32 v25, v29, 23, 8
	s_movk_i32 s0, 0x7a
	v_sub_u32_e32 v30, 0x79, v25
	v_cmp_gt_u32_e32 vcc, s0, v25
	v_add_u32_e32 v29, 0xffffff81, v25
	v_cndmask_b32_e32 v30, 0, v30, vcc
	v_mov_b32_e32 v32, 0xffffff82
	v_cmp_eq_u32_e32 vcc, 0, v25
	v_cndmask_b32_e32 v25, v29, v32, vcc
	v_mov_b32_e32 v29, 0x78
	v_cndmask_b32_e32 v29, v30, v29, vcc
	v_or_b32_e32 v31, 0x800000, v4
	v_add_u32_e32 v30, 20, v29
	v_cndmask_b32_e32 v4, v31, v4, vcc
	v_lshlrev_b64 v[30:31], v30, -1
	v_not_b32_e32 v30, v30
	v_and_b32_e32 v32, v4, v30
	v_add_u32_e32 v30, 19, v29
	v_lshrrev_b64 v[4:5], v29, v[4:5]
	v_not_b32_e32 v31, v31
	v_lshlrev_b64 v[34:35], v30, 1
	v_lshrrev_b32_e32 v30, 23, v4
	v_and_b32_e32 v33, 0, v31
	v_add3_u32 v30, v29, v25, v30
	v_bfe_u32 v29, v4, 20, 1
	v_add_u32_e32 v29, -1, v29
	v_cmp_eq_u64_e32 vcc, v[32:33], v[34:35]
	v_cndmask_b32_e32 v29, 0, v29, vcc
	v_add_u32_e32 v29, v29, v4
	v_and_b32_e32 v29, 0xfffff, v29
	v_add_co_u32_e32 v4, vcc, v29, v4
	v_add_u32_e32 v25, 6, v30
	v_addc_co_u32_e32 v5, vcc, 0, v5, vcc
	v_cmp_ne_u32_e32 vcc, 0, v25
                                        ; implicit-def: $vgpr29
	s_and_saveexec_b64 s[0:1], vcc
	s_xor_b64 s[0:1], exec, s[0:1]
; %bb.174:
	s_mov_b64 s[18:19], 0xffffff
	v_add_u32_e32 v29, 7, v30
	v_cmp_lt_u64_e32 vcc, s[18:19], v[4:5]
	v_cndmask_b32_e32 v29, v25, v29, vcc
	v_cndmask_b32_e64 v25, 0, 1, vcc
	v_lshrrev_b64 v[4:5], v25, v[4:5]
; %bb.175:
	s_andn2_saveexec_b64 s[0:1], s[0:1]
; %bb.176:
	v_bfe_u32 v29, v4, 23, 1
; %bb.177:
	s_or_b64 exec, exec, s[0:1]
	v_lshrrev_b64 v[4:5], 20, v[4:5]
	v_cmp_gt_i32_e32 vcc, 16, v29
	v_cndmask_b32_e32 v5, 0, v5, vcc
	v_cndmask_b32_e32 v4, 7, v4, vcc
	v_cmp_ne_u32_e32 vcc, 0, v29
	v_cmp_ne_u64_e64 s[0:1], 0, v[4:5]
	s_or_b64 s[0:1], vcc, s[0:1]
                                        ; implicit-def: $vgpr25
	s_and_saveexec_b64 s[18:19], s[0:1]
	s_xor_b64 s[0:1], exec, s[18:19]
; %bb.178:
	v_min_i32_e32 v5, 15, v29
	v_lshl_or_b32 v5, v5, 3, v28
	v_and_or_b32 v25, v4, 7, v5
                                        ; implicit-def: $vgpr28
; %bb.179:
	s_andn2_saveexec_b64 s[0:1], s[0:1]
; %bb.180:
	v_mov_b32_e32 v25, v28
; %bb.181:
	s_or_b64 exec, exec, s[0:1]
.LBB3_182:
	s_or_b64 exec, exec, s[16:17]
.LBB3_183:
	s_andn2_saveexec_b64 s[0:1], s[14:15]
	s_or_b64 exec, exec, s[0:1]
                                        ; implicit-def: $vgpr29
                                        ; implicit-def: $vgpr4_vgpr5
.LBB3_184:
	s_andn2_saveexec_b64 s[0:1], s[8:9]
; %bb.185:
	s_movk_i32 s8, 0x7f
	v_or_b32_sdwa v28, v29, s8 dst_sel:DWORD dst_unused:UNUSED_PAD src0_sel:BYTE_3 src1_sel:DWORD
	v_cmp_eq_u64_e32 vcc, 0, v[4:5]
	v_cndmask_b32_e32 v25, v28, v25, vcc
; %bb.186:
	s_or_b64 exec, exec, s[0:1]
	v_mul_f32_e32 v4, v9, v23
	v_max_f32_e32 v4, 0xc3e00000, v4
	v_min_f32_e32 v29, 0x43e00000, v4
	v_mov_b32_e32 v5, 0
	s_movk_i32 s0, 0x80
	v_and_b32_sdwa v28, v29, s0 dst_sel:DWORD dst_unused:UNUSED_PAD src0_sel:BYTE_3 src1_sel:DWORD
	v_and_b32_e32 v30, 0x7f800000, v29
	v_mov_b32_e32 v31, v5
	s_mov_b64 s[0:1], 0x7f800000
	v_and_b32_e32 v4, 0x7fffff, v29
	v_or_b32_e32 v23, 0x7e, v28
	v_cmp_ne_u64_e32 vcc, s[0:1], v[30:31]
	s_and_saveexec_b64 s[0:1], vcc
	s_xor_b64 s[8:9], exec, s[0:1]
	s_cbranch_execz .LBB3_200
; %bb.187:
	v_and_b32_e32 v30, 0x7fffffff, v29
	v_mov_b32_e32 v31, v5
	s_mov_b64 s[0:1], 0x43e00001
	v_cmp_gt_u64_e32 vcc, s[0:1], v[30:31]
	s_and_saveexec_b64 s[0:1], vcc
	s_xor_b64 s[14:15], exec, s[0:1]
	s_cbranch_execz .LBB3_199
; %bb.188:
	v_cmp_ne_u32_e32 vcc, 0, v29
	v_mov_b32_e32 v23, 0
	s_and_saveexec_b64 s[16:17], vcc
	s_cbranch_execz .LBB3_198
; %bb.189:
	v_bfe_u32 v23, v29, 23, 8
	s_movk_i32 s0, 0x7a
	v_sub_u32_e32 v30, 0x79, v23
	v_cmp_gt_u32_e32 vcc, s0, v23
	v_add_u32_e32 v29, 0xffffff81, v23
	v_cndmask_b32_e32 v30, 0, v30, vcc
	v_mov_b32_e32 v32, 0xffffff82
	v_cmp_eq_u32_e32 vcc, 0, v23
	v_cndmask_b32_e32 v23, v29, v32, vcc
	v_mov_b32_e32 v29, 0x78
	v_cndmask_b32_e32 v29, v30, v29, vcc
	v_or_b32_e32 v31, 0x800000, v4
	v_add_u32_e32 v30, 20, v29
	v_cndmask_b32_e32 v4, v31, v4, vcc
	v_lshlrev_b64 v[30:31], v30, -1
	v_not_b32_e32 v30, v30
	v_and_b32_e32 v32, v4, v30
	v_add_u32_e32 v30, 19, v29
	v_lshrrev_b64 v[4:5], v29, v[4:5]
	v_not_b32_e32 v31, v31
	v_lshlrev_b64 v[34:35], v30, 1
	v_lshrrev_b32_e32 v30, 23, v4
	v_and_b32_e32 v33, 0, v31
	v_add3_u32 v30, v29, v23, v30
	v_bfe_u32 v29, v4, 20, 1
	v_add_u32_e32 v29, -1, v29
	v_cmp_eq_u64_e32 vcc, v[32:33], v[34:35]
	v_cndmask_b32_e32 v29, 0, v29, vcc
	v_add_u32_e32 v29, v29, v4
	v_and_b32_e32 v29, 0xfffff, v29
	v_add_co_u32_e32 v4, vcc, v29, v4
	v_add_u32_e32 v23, 6, v30
	v_addc_co_u32_e32 v5, vcc, 0, v5, vcc
	v_cmp_ne_u32_e32 vcc, 0, v23
                                        ; implicit-def: $vgpr29
	s_and_saveexec_b64 s[0:1], vcc
	s_xor_b64 s[0:1], exec, s[0:1]
; %bb.190:
	s_mov_b64 s[18:19], 0xffffff
	v_add_u32_e32 v29, 7, v30
	v_cmp_lt_u64_e32 vcc, s[18:19], v[4:5]
	v_cndmask_b32_e32 v29, v23, v29, vcc
	v_cndmask_b32_e64 v23, 0, 1, vcc
	v_lshrrev_b64 v[4:5], v23, v[4:5]
; %bb.191:
	s_andn2_saveexec_b64 s[0:1], s[0:1]
; %bb.192:
	v_bfe_u32 v29, v4, 23, 1
; %bb.193:
	s_or_b64 exec, exec, s[0:1]
	v_lshrrev_b64 v[4:5], 20, v[4:5]
	v_cmp_gt_i32_e32 vcc, 16, v29
	v_cndmask_b32_e32 v5, 0, v5, vcc
	v_cndmask_b32_e32 v4, 7, v4, vcc
	v_cmp_ne_u32_e32 vcc, 0, v29
	v_cmp_ne_u64_e64 s[0:1], 0, v[4:5]
	s_or_b64 s[0:1], vcc, s[0:1]
                                        ; implicit-def: $vgpr23
	s_and_saveexec_b64 s[18:19], s[0:1]
	s_xor_b64 s[0:1], exec, s[18:19]
; %bb.194:
	v_min_i32_e32 v5, 15, v29
	v_lshl_or_b32 v5, v5, 3, v28
	v_and_or_b32 v23, v4, 7, v5
                                        ; implicit-def: $vgpr28
; %bb.195:
	s_andn2_saveexec_b64 s[0:1], s[0:1]
; %bb.196:
	v_mov_b32_e32 v23, v28
; %bb.197:
	s_or_b64 exec, exec, s[0:1]
.LBB3_198:
	s_or_b64 exec, exec, s[16:17]
.LBB3_199:
	s_andn2_saveexec_b64 s[0:1], s[14:15]
	s_or_b64 exec, exec, s[0:1]
                                        ; implicit-def: $vgpr29
                                        ; implicit-def: $vgpr4_vgpr5
.LBB3_200:
	s_andn2_saveexec_b64 s[0:1], s[8:9]
; %bb.201:
	s_movk_i32 s8, 0x7f
	v_or_b32_sdwa v28, v29, s8 dst_sel:DWORD dst_unused:UNUSED_PAD src0_sel:BYTE_3 src1_sel:DWORD
	v_cmp_eq_u64_e32 vcc, 0, v[4:5]
	v_cndmask_b32_e32 v23, v28, v23, vcc
; %bb.202:
	s_or_b64 exec, exec, s[0:1]
	v_mul_f32_e32 v4, v9, v22
	v_max_f32_e32 v4, 0xc3e00000, v4
	v_min_f32_e32 v29, 0x43e00000, v4
	v_mov_b32_e32 v5, 0
	s_movk_i32 s0, 0x80
	v_and_b32_sdwa v28, v29, s0 dst_sel:DWORD dst_unused:UNUSED_PAD src0_sel:BYTE_3 src1_sel:DWORD
	v_and_b32_e32 v30, 0x7f800000, v29
	v_mov_b32_e32 v31, v5
	s_mov_b64 s[0:1], 0x7f800000
	v_and_b32_e32 v4, 0x7fffff, v29
	v_or_b32_e32 v22, 0x7e, v28
	v_cmp_ne_u64_e32 vcc, s[0:1], v[30:31]
	s_and_saveexec_b64 s[0:1], vcc
	s_xor_b64 s[8:9], exec, s[0:1]
	s_cbranch_execz .LBB3_216
; %bb.203:
	v_and_b32_e32 v30, 0x7fffffff, v29
	v_mov_b32_e32 v31, v5
	s_mov_b64 s[0:1], 0x43e00001
	v_cmp_gt_u64_e32 vcc, s[0:1], v[30:31]
	s_and_saveexec_b64 s[0:1], vcc
	s_xor_b64 s[14:15], exec, s[0:1]
	s_cbranch_execz .LBB3_215
; %bb.204:
	v_cmp_ne_u32_e32 vcc, 0, v29
	v_mov_b32_e32 v22, 0
	s_and_saveexec_b64 s[16:17], vcc
	s_cbranch_execz .LBB3_214
; %bb.205:
	v_bfe_u32 v22, v29, 23, 8
	s_movk_i32 s0, 0x7a
	v_sub_u32_e32 v30, 0x79, v22
	v_cmp_gt_u32_e32 vcc, s0, v22
	v_add_u32_e32 v29, 0xffffff81, v22
	v_cndmask_b32_e32 v30, 0, v30, vcc
	v_mov_b32_e32 v32, 0xffffff82
	v_cmp_eq_u32_e32 vcc, 0, v22
	v_cndmask_b32_e32 v22, v29, v32, vcc
	v_mov_b32_e32 v29, 0x78
	v_cndmask_b32_e32 v29, v30, v29, vcc
	v_or_b32_e32 v31, 0x800000, v4
	v_add_u32_e32 v30, 20, v29
	v_cndmask_b32_e32 v4, v31, v4, vcc
	v_lshlrev_b64 v[30:31], v30, -1
	v_not_b32_e32 v30, v30
	v_and_b32_e32 v32, v4, v30
	v_add_u32_e32 v30, 19, v29
	v_lshrrev_b64 v[4:5], v29, v[4:5]
	v_not_b32_e32 v31, v31
	v_lshlrev_b64 v[34:35], v30, 1
	v_lshrrev_b32_e32 v30, 23, v4
	v_and_b32_e32 v33, 0, v31
	v_add3_u32 v30, v29, v22, v30
	v_bfe_u32 v29, v4, 20, 1
	v_add_u32_e32 v29, -1, v29
	v_cmp_eq_u64_e32 vcc, v[32:33], v[34:35]
	v_cndmask_b32_e32 v29, 0, v29, vcc
	v_add_u32_e32 v29, v29, v4
	v_and_b32_e32 v29, 0xfffff, v29
	v_add_co_u32_e32 v4, vcc, v29, v4
	v_add_u32_e32 v22, 6, v30
	v_addc_co_u32_e32 v5, vcc, 0, v5, vcc
	v_cmp_ne_u32_e32 vcc, 0, v22
                                        ; implicit-def: $vgpr29
	s_and_saveexec_b64 s[0:1], vcc
	s_xor_b64 s[0:1], exec, s[0:1]
; %bb.206:
	s_mov_b64 s[18:19], 0xffffff
	v_add_u32_e32 v29, 7, v30
	v_cmp_lt_u64_e32 vcc, s[18:19], v[4:5]
	v_cndmask_b32_e32 v29, v22, v29, vcc
	v_cndmask_b32_e64 v22, 0, 1, vcc
	v_lshrrev_b64 v[4:5], v22, v[4:5]
; %bb.207:
	s_andn2_saveexec_b64 s[0:1], s[0:1]
; %bb.208:
	v_bfe_u32 v29, v4, 23, 1
; %bb.209:
	s_or_b64 exec, exec, s[0:1]
	v_lshrrev_b64 v[4:5], 20, v[4:5]
	v_cmp_gt_i32_e32 vcc, 16, v29
	v_cndmask_b32_e32 v5, 0, v5, vcc
	v_cndmask_b32_e32 v4, 7, v4, vcc
	v_cmp_ne_u32_e32 vcc, 0, v29
	v_cmp_ne_u64_e64 s[0:1], 0, v[4:5]
	s_or_b64 s[0:1], vcc, s[0:1]
                                        ; implicit-def: $vgpr22
	s_and_saveexec_b64 s[18:19], s[0:1]
	s_xor_b64 s[0:1], exec, s[18:19]
; %bb.210:
	v_min_i32_e32 v5, 15, v29
	v_lshl_or_b32 v5, v5, 3, v28
	v_and_or_b32 v22, v4, 7, v5
                                        ; implicit-def: $vgpr28
; %bb.211:
	s_andn2_saveexec_b64 s[0:1], s[0:1]
; %bb.212:
	v_mov_b32_e32 v22, v28
; %bb.213:
	s_or_b64 exec, exec, s[0:1]
.LBB3_214:
	s_or_b64 exec, exec, s[16:17]
.LBB3_215:
	s_andn2_saveexec_b64 s[0:1], s[14:15]
	s_or_b64 exec, exec, s[0:1]
                                        ; implicit-def: $vgpr29
                                        ; implicit-def: $vgpr4_vgpr5
.LBB3_216:
	s_andn2_saveexec_b64 s[0:1], s[8:9]
; %bb.217:
	s_movk_i32 s8, 0x7f
	v_or_b32_sdwa v28, v29, s8 dst_sel:DWORD dst_unused:UNUSED_PAD src0_sel:BYTE_3 src1_sel:DWORD
	v_cmp_eq_u64_e32 vcc, 0, v[4:5]
	v_cndmask_b32_e32 v22, v28, v22, vcc
; %bb.218:
	s_or_b64 exec, exec, s[0:1]
	v_mul_f32_e32 v4, v9, v15
	v_max_f32_e32 v4, 0xc3e00000, v4
	v_min_f32_e32 v29, 0x43e00000, v4
	v_mov_b32_e32 v5, 0
	s_movk_i32 s0, 0x80
	v_and_b32_sdwa v28, v29, s0 dst_sel:DWORD dst_unused:UNUSED_PAD src0_sel:BYTE_3 src1_sel:DWORD
	v_and_b32_e32 v30, 0x7f800000, v29
	v_mov_b32_e32 v31, v5
	s_mov_b64 s[0:1], 0x7f800000
	v_and_b32_e32 v4, 0x7fffff, v29
	v_or_b32_e32 v15, 0x7e, v28
	v_cmp_ne_u64_e32 vcc, s[0:1], v[30:31]
	s_and_saveexec_b64 s[0:1], vcc
	s_xor_b64 s[8:9], exec, s[0:1]
	s_cbranch_execz .LBB3_232
; %bb.219:
	v_and_b32_e32 v30, 0x7fffffff, v29
	v_mov_b32_e32 v31, v5
	s_mov_b64 s[0:1], 0x43e00001
	v_cmp_gt_u64_e32 vcc, s[0:1], v[30:31]
	s_and_saveexec_b64 s[0:1], vcc
	s_xor_b64 s[14:15], exec, s[0:1]
	s_cbranch_execz .LBB3_231
; %bb.220:
	v_cmp_ne_u32_e32 vcc, 0, v29
	v_mov_b32_e32 v15, 0
	s_and_saveexec_b64 s[16:17], vcc
	s_cbranch_execz .LBB3_230
; %bb.221:
	v_bfe_u32 v15, v29, 23, 8
	s_movk_i32 s0, 0x7a
	v_sub_u32_e32 v30, 0x79, v15
	v_cmp_gt_u32_e32 vcc, s0, v15
	v_add_u32_e32 v29, 0xffffff81, v15
	v_cndmask_b32_e32 v30, 0, v30, vcc
	v_mov_b32_e32 v32, 0xffffff82
	v_cmp_eq_u32_e32 vcc, 0, v15
	v_cndmask_b32_e32 v15, v29, v32, vcc
	v_mov_b32_e32 v29, 0x78
	v_cndmask_b32_e32 v29, v30, v29, vcc
	v_or_b32_e32 v31, 0x800000, v4
	v_add_u32_e32 v30, 20, v29
	v_cndmask_b32_e32 v4, v31, v4, vcc
	v_lshlrev_b64 v[30:31], v30, -1
	v_not_b32_e32 v30, v30
	v_and_b32_e32 v32, v4, v30
	v_add_u32_e32 v30, 19, v29
	v_lshrrev_b64 v[4:5], v29, v[4:5]
	v_not_b32_e32 v31, v31
	v_lshlrev_b64 v[34:35], v30, 1
	v_lshrrev_b32_e32 v30, 23, v4
	v_and_b32_e32 v33, 0, v31
	v_add3_u32 v30, v29, v15, v30
	v_bfe_u32 v29, v4, 20, 1
	v_add_u32_e32 v29, -1, v29
	v_cmp_eq_u64_e32 vcc, v[32:33], v[34:35]
	v_cndmask_b32_e32 v29, 0, v29, vcc
	v_add_u32_e32 v29, v29, v4
	v_and_b32_e32 v29, 0xfffff, v29
	v_add_co_u32_e32 v4, vcc, v29, v4
	v_add_u32_e32 v15, 6, v30
	v_addc_co_u32_e32 v5, vcc, 0, v5, vcc
	v_cmp_ne_u32_e32 vcc, 0, v15
                                        ; implicit-def: $vgpr29
	s_and_saveexec_b64 s[0:1], vcc
	s_xor_b64 s[0:1], exec, s[0:1]
; %bb.222:
	s_mov_b64 s[18:19], 0xffffff
	v_add_u32_e32 v29, 7, v30
	v_cmp_lt_u64_e32 vcc, s[18:19], v[4:5]
	v_cndmask_b32_e32 v29, v15, v29, vcc
	v_cndmask_b32_e64 v15, 0, 1, vcc
	v_lshrrev_b64 v[4:5], v15, v[4:5]
; %bb.223:
	s_andn2_saveexec_b64 s[0:1], s[0:1]
; %bb.224:
	v_bfe_u32 v29, v4, 23, 1
; %bb.225:
	s_or_b64 exec, exec, s[0:1]
	v_lshrrev_b64 v[4:5], 20, v[4:5]
	v_cmp_gt_i32_e32 vcc, 16, v29
	v_cndmask_b32_e32 v5, 0, v5, vcc
	v_cndmask_b32_e32 v4, 7, v4, vcc
	v_cmp_ne_u32_e32 vcc, 0, v29
	v_cmp_ne_u64_e64 s[0:1], 0, v[4:5]
	s_or_b64 s[0:1], vcc, s[0:1]
                                        ; implicit-def: $vgpr15
	s_and_saveexec_b64 s[18:19], s[0:1]
	s_xor_b64 s[0:1], exec, s[18:19]
; %bb.226:
	v_min_i32_e32 v5, 15, v29
	v_lshl_or_b32 v5, v5, 3, v28
	v_and_or_b32 v15, v4, 7, v5
                                        ; implicit-def: $vgpr28
; %bb.227:
	s_andn2_saveexec_b64 s[0:1], s[0:1]
; %bb.228:
	v_mov_b32_e32 v15, v28
; %bb.229:
	s_or_b64 exec, exec, s[0:1]
.LBB3_230:
	s_or_b64 exec, exec, s[16:17]
.LBB3_231:
	s_andn2_saveexec_b64 s[0:1], s[14:15]
	s_or_b64 exec, exec, s[0:1]
                                        ; implicit-def: $vgpr29
                                        ; implicit-def: $vgpr4_vgpr5
.LBB3_232:
	s_andn2_saveexec_b64 s[0:1], s[8:9]
; %bb.233:
	s_movk_i32 s8, 0x7f
	v_or_b32_sdwa v28, v29, s8 dst_sel:DWORD dst_unused:UNUSED_PAD src0_sel:BYTE_3 src1_sel:DWORD
	v_cmp_eq_u64_e32 vcc, 0, v[4:5]
	v_cndmask_b32_e32 v15, v28, v15, vcc
; %bb.234:
	s_or_b64 exec, exec, s[0:1]
	v_mul_f32_e32 v4, v9, v13
	v_max_f32_e32 v4, 0xc3e00000, v4
	v_min_f32_e32 v29, 0x43e00000, v4
	v_mov_b32_e32 v5, 0
	s_movk_i32 s0, 0x80
	v_and_b32_sdwa v28, v29, s0 dst_sel:DWORD dst_unused:UNUSED_PAD src0_sel:BYTE_3 src1_sel:DWORD
	v_and_b32_e32 v30, 0x7f800000, v29
	v_mov_b32_e32 v31, v5
	s_mov_b64 s[0:1], 0x7f800000
	v_and_b32_e32 v4, 0x7fffff, v29
	v_or_b32_e32 v13, 0x7e, v28
	v_cmp_ne_u64_e32 vcc, s[0:1], v[30:31]
	s_and_saveexec_b64 s[0:1], vcc
	s_xor_b64 s[8:9], exec, s[0:1]
	s_cbranch_execz .LBB3_248
; %bb.235:
	v_and_b32_e32 v30, 0x7fffffff, v29
	v_mov_b32_e32 v31, v5
	s_mov_b64 s[0:1], 0x43e00001
	v_cmp_gt_u64_e32 vcc, s[0:1], v[30:31]
	s_and_saveexec_b64 s[0:1], vcc
	s_xor_b64 s[14:15], exec, s[0:1]
	s_cbranch_execz .LBB3_247
; %bb.236:
	v_cmp_ne_u32_e32 vcc, 0, v29
	v_mov_b32_e32 v13, 0
	s_and_saveexec_b64 s[16:17], vcc
	s_cbranch_execz .LBB3_246
; %bb.237:
	v_bfe_u32 v13, v29, 23, 8
	s_movk_i32 s0, 0x7a
	v_sub_u32_e32 v30, 0x79, v13
	v_cmp_gt_u32_e32 vcc, s0, v13
	v_add_u32_e32 v29, 0xffffff81, v13
	v_cndmask_b32_e32 v30, 0, v30, vcc
	v_mov_b32_e32 v32, 0xffffff82
	v_cmp_eq_u32_e32 vcc, 0, v13
	v_cndmask_b32_e32 v13, v29, v32, vcc
	v_mov_b32_e32 v29, 0x78
	v_cndmask_b32_e32 v29, v30, v29, vcc
	v_or_b32_e32 v31, 0x800000, v4
	v_add_u32_e32 v30, 20, v29
	v_cndmask_b32_e32 v4, v31, v4, vcc
	v_lshlrev_b64 v[30:31], v30, -1
	v_not_b32_e32 v30, v30
	v_and_b32_e32 v32, v4, v30
	v_add_u32_e32 v30, 19, v29
	v_lshrrev_b64 v[4:5], v29, v[4:5]
	v_not_b32_e32 v31, v31
	v_lshlrev_b64 v[34:35], v30, 1
	v_lshrrev_b32_e32 v30, 23, v4
	v_and_b32_e32 v33, 0, v31
	v_add3_u32 v30, v29, v13, v30
	v_bfe_u32 v29, v4, 20, 1
	v_add_u32_e32 v29, -1, v29
	v_cmp_eq_u64_e32 vcc, v[32:33], v[34:35]
	v_cndmask_b32_e32 v29, 0, v29, vcc
	v_add_u32_e32 v29, v29, v4
	v_and_b32_e32 v29, 0xfffff, v29
	v_add_co_u32_e32 v4, vcc, v29, v4
	v_add_u32_e32 v13, 6, v30
	v_addc_co_u32_e32 v5, vcc, 0, v5, vcc
	v_cmp_ne_u32_e32 vcc, 0, v13
                                        ; implicit-def: $vgpr29
	s_and_saveexec_b64 s[0:1], vcc
	s_xor_b64 s[0:1], exec, s[0:1]
; %bb.238:
	s_mov_b64 s[18:19], 0xffffff
	v_add_u32_e32 v29, 7, v30
	v_cmp_lt_u64_e32 vcc, s[18:19], v[4:5]
	v_cndmask_b32_e32 v29, v13, v29, vcc
	v_cndmask_b32_e64 v13, 0, 1, vcc
	v_lshrrev_b64 v[4:5], v13, v[4:5]
; %bb.239:
	s_andn2_saveexec_b64 s[0:1], s[0:1]
; %bb.240:
	v_bfe_u32 v29, v4, 23, 1
; %bb.241:
	s_or_b64 exec, exec, s[0:1]
	v_lshrrev_b64 v[4:5], 20, v[4:5]
	v_cmp_gt_i32_e32 vcc, 16, v29
	v_cndmask_b32_e32 v5, 0, v5, vcc
	v_cndmask_b32_e32 v4, 7, v4, vcc
	v_cmp_ne_u32_e32 vcc, 0, v29
	v_cmp_ne_u64_e64 s[0:1], 0, v[4:5]
	s_or_b64 s[0:1], vcc, s[0:1]
                                        ; implicit-def: $vgpr13
	s_and_saveexec_b64 s[18:19], s[0:1]
	s_xor_b64 s[0:1], exec, s[18:19]
; %bb.242:
	v_min_i32_e32 v5, 15, v29
	v_lshl_or_b32 v5, v5, 3, v28
	v_and_or_b32 v13, v4, 7, v5
                                        ; implicit-def: $vgpr28
; %bb.243:
	s_andn2_saveexec_b64 s[0:1], s[0:1]
; %bb.244:
	v_mov_b32_e32 v13, v28
; %bb.245:
	s_or_b64 exec, exec, s[0:1]
.LBB3_246:
	s_or_b64 exec, exec, s[16:17]
.LBB3_247:
	s_andn2_saveexec_b64 s[0:1], s[14:15]
	s_or_b64 exec, exec, s[0:1]
                                        ; implicit-def: $vgpr29
                                        ; implicit-def: $vgpr4_vgpr5
.LBB3_248:
	s_andn2_saveexec_b64 s[0:1], s[8:9]
; %bb.249:
	s_movk_i32 s8, 0x7f
	v_or_b32_sdwa v28, v29, s8 dst_sel:DWORD dst_unused:UNUSED_PAD src0_sel:BYTE_3 src1_sel:DWORD
	v_cmp_eq_u64_e32 vcc, 0, v[4:5]
	v_cndmask_b32_e32 v13, v28, v13, vcc
; %bb.250:
	s_or_b64 exec, exec, s[0:1]
	v_mul_f32_e32 v4, v9, v11
	v_max_f32_e32 v4, 0xc3e00000, v4
	v_min_f32_e32 v29, 0x43e00000, v4
	v_mov_b32_e32 v5, 0
	s_movk_i32 s0, 0x80
	v_and_b32_sdwa v28, v29, s0 dst_sel:DWORD dst_unused:UNUSED_PAD src0_sel:BYTE_3 src1_sel:DWORD
	v_and_b32_e32 v30, 0x7f800000, v29
	v_mov_b32_e32 v31, v5
	s_mov_b64 s[0:1], 0x7f800000
	v_and_b32_e32 v4, 0x7fffff, v29
	v_or_b32_e32 v11, 0x7e, v28
	v_cmp_ne_u64_e32 vcc, s[0:1], v[30:31]
	s_and_saveexec_b64 s[0:1], vcc
	s_xor_b64 s[8:9], exec, s[0:1]
	s_cbranch_execz .LBB3_264
; %bb.251:
	v_and_b32_e32 v30, 0x7fffffff, v29
	v_mov_b32_e32 v31, v5
	s_mov_b64 s[0:1], 0x43e00001
	v_cmp_gt_u64_e32 vcc, s[0:1], v[30:31]
	s_and_saveexec_b64 s[0:1], vcc
	s_xor_b64 s[14:15], exec, s[0:1]
	s_cbranch_execz .LBB3_263
; %bb.252:
	v_cmp_ne_u32_e32 vcc, 0, v29
	v_mov_b32_e32 v11, 0
	s_and_saveexec_b64 s[16:17], vcc
	s_cbranch_execz .LBB3_262
; %bb.253:
	v_bfe_u32 v11, v29, 23, 8
	s_movk_i32 s0, 0x7a
	v_sub_u32_e32 v30, 0x79, v11
	v_cmp_gt_u32_e32 vcc, s0, v11
	v_add_u32_e32 v29, 0xffffff81, v11
	v_cndmask_b32_e32 v30, 0, v30, vcc
	v_mov_b32_e32 v32, 0xffffff82
	v_cmp_eq_u32_e32 vcc, 0, v11
	v_cndmask_b32_e32 v11, v29, v32, vcc
	v_mov_b32_e32 v29, 0x78
	v_cndmask_b32_e32 v29, v30, v29, vcc
	v_or_b32_e32 v31, 0x800000, v4
	v_add_u32_e32 v30, 20, v29
	v_cndmask_b32_e32 v4, v31, v4, vcc
	v_lshlrev_b64 v[30:31], v30, -1
	v_not_b32_e32 v30, v30
	v_and_b32_e32 v32, v4, v30
	v_add_u32_e32 v30, 19, v29
	v_lshrrev_b64 v[4:5], v29, v[4:5]
	v_not_b32_e32 v31, v31
	v_lshlrev_b64 v[34:35], v30, 1
	v_lshrrev_b32_e32 v30, 23, v4
	v_and_b32_e32 v33, 0, v31
	v_add3_u32 v30, v29, v11, v30
	v_bfe_u32 v29, v4, 20, 1
	v_add_u32_e32 v29, -1, v29
	v_cmp_eq_u64_e32 vcc, v[32:33], v[34:35]
	v_cndmask_b32_e32 v29, 0, v29, vcc
	v_add_u32_e32 v29, v29, v4
	v_and_b32_e32 v29, 0xfffff, v29
	v_add_co_u32_e32 v4, vcc, v29, v4
	v_add_u32_e32 v11, 6, v30
	v_addc_co_u32_e32 v5, vcc, 0, v5, vcc
	v_cmp_ne_u32_e32 vcc, 0, v11
                                        ; implicit-def: $vgpr29
	s_and_saveexec_b64 s[0:1], vcc
	s_xor_b64 s[0:1], exec, s[0:1]
; %bb.254:
	s_mov_b64 s[18:19], 0xffffff
	v_add_u32_e32 v29, 7, v30
	v_cmp_lt_u64_e32 vcc, s[18:19], v[4:5]
	v_cndmask_b32_e32 v29, v11, v29, vcc
	v_cndmask_b32_e64 v11, 0, 1, vcc
	v_lshrrev_b64 v[4:5], v11, v[4:5]
; %bb.255:
	s_andn2_saveexec_b64 s[0:1], s[0:1]
; %bb.256:
	v_bfe_u32 v29, v4, 23, 1
; %bb.257:
	s_or_b64 exec, exec, s[0:1]
	v_lshrrev_b64 v[4:5], 20, v[4:5]
	v_cmp_gt_i32_e32 vcc, 16, v29
	v_cndmask_b32_e32 v5, 0, v5, vcc
	v_cndmask_b32_e32 v4, 7, v4, vcc
	v_cmp_ne_u32_e32 vcc, 0, v29
	v_cmp_ne_u64_e64 s[0:1], 0, v[4:5]
	s_or_b64 s[0:1], vcc, s[0:1]
                                        ; implicit-def: $vgpr11
	s_and_saveexec_b64 s[18:19], s[0:1]
	s_xor_b64 s[0:1], exec, s[18:19]
; %bb.258:
	v_min_i32_e32 v5, 15, v29
	v_lshl_or_b32 v5, v5, 3, v28
	v_and_or_b32 v11, v4, 7, v5
                                        ; implicit-def: $vgpr28
; %bb.259:
	s_andn2_saveexec_b64 s[0:1], s[0:1]
; %bb.260:
	v_mov_b32_e32 v11, v28
; %bb.261:
	s_or_b64 exec, exec, s[0:1]
.LBB3_262:
	s_or_b64 exec, exec, s[16:17]
.LBB3_263:
	s_andn2_saveexec_b64 s[0:1], s[14:15]
	s_or_b64 exec, exec, s[0:1]
                                        ; implicit-def: $vgpr29
                                        ; implicit-def: $vgpr4_vgpr5
.LBB3_264:
	s_andn2_saveexec_b64 s[0:1], s[8:9]
; %bb.265:
	s_movk_i32 s8, 0x7f
	v_or_b32_sdwa v28, v29, s8 dst_sel:DWORD dst_unused:UNUSED_PAD src0_sel:BYTE_3 src1_sel:DWORD
	v_cmp_eq_u64_e32 vcc, 0, v[4:5]
	v_cndmask_b32_e32 v11, v28, v11, vcc
; %bb.266:
	s_or_b64 exec, exec, s[0:1]
	v_mul_f32_e32 v4, v9, v8
	v_max_f32_e32 v4, 0xc3e00000, v4
	v_min_f32_e32 v28, 0x43e00000, v4
	v_mov_b32_e32 v5, 0
	s_movk_i32 s0, 0x80
	v_and_b32_sdwa v8, v28, s0 dst_sel:DWORD dst_unused:UNUSED_PAD src0_sel:BYTE_3 src1_sel:DWORD
	v_and_b32_e32 v30, 0x7f800000, v28
	v_mov_b32_e32 v31, v5
	s_mov_b64 s[0:1], 0x7f800000
	v_and_b32_e32 v4, 0x7fffff, v28
	v_or_b32_e32 v9, 0x7e, v8
	v_cmp_ne_u64_e32 vcc, s[0:1], v[30:31]
	s_and_saveexec_b64 s[0:1], vcc
	s_xor_b64 s[8:9], exec, s[0:1]
	s_cbranch_execz .LBB3_280
; %bb.267:
	v_and_b32_e32 v30, 0x7fffffff, v28
	v_mov_b32_e32 v31, v5
	s_mov_b64 s[0:1], 0x43e00001
	v_cmp_gt_u64_e32 vcc, s[0:1], v[30:31]
	s_and_saveexec_b64 s[0:1], vcc
	s_xor_b64 s[14:15], exec, s[0:1]
	s_cbranch_execz .LBB3_279
; %bb.268:
	v_cmp_ne_u32_e32 vcc, 0, v28
	v_mov_b32_e32 v9, 0
	s_and_saveexec_b64 s[16:17], vcc
	s_cbranch_execz .LBB3_278
; %bb.269:
	v_bfe_u32 v9, v28, 23, 8
	s_movk_i32 s0, 0x7a
	v_sub_u32_e32 v29, 0x79, v9
	v_cmp_gt_u32_e32 vcc, s0, v9
	v_add_u32_e32 v28, 0xffffff81, v9
	v_cndmask_b32_e32 v29, 0, v29, vcc
	v_mov_b32_e32 v31, 0xffffff82
	v_cmp_eq_u32_e32 vcc, 0, v9
	v_cndmask_b32_e32 v9, v28, v31, vcc
	v_mov_b32_e32 v28, 0x78
	v_cndmask_b32_e32 v34, v29, v28, vcc
	v_add_u32_e32 v28, 20, v34
	v_or_b32_e32 v30, 0x800000, v4
	v_lshlrev_b64 v[28:29], v28, -1
	v_cndmask_b32_e32 v4, v30, v4, vcc
	v_not_b32_e32 v28, v28
	v_and_b32_e32 v30, v4, v28
	v_add_u32_e32 v28, 19, v34
	v_lshrrev_b64 v[4:5], v34, v[4:5]
	v_not_b32_e32 v29, v29
	v_lshlrev_b64 v[32:33], v28, 1
	v_lshrrev_b32_e32 v28, 23, v4
	v_and_b32_e32 v31, 0, v29
	v_add3_u32 v29, v34, v9, v28
	v_bfe_u32 v28, v4, 20, 1
	v_add_u32_e32 v28, -1, v28
	v_cmp_eq_u64_e32 vcc, v[30:31], v[32:33]
	v_cndmask_b32_e32 v28, 0, v28, vcc
	v_add_u32_e32 v28, v28, v4
	v_and_b32_e32 v28, 0xfffff, v28
	v_add_co_u32_e32 v4, vcc, v28, v4
	v_add_u32_e32 v9, 6, v29
	v_addc_co_u32_e32 v5, vcc, 0, v5, vcc
	v_cmp_ne_u32_e32 vcc, 0, v9
                                        ; implicit-def: $vgpr28
	s_and_saveexec_b64 s[0:1], vcc
	s_xor_b64 s[0:1], exec, s[0:1]
; %bb.270:
	s_mov_b64 s[18:19], 0xffffff
	v_add_u32_e32 v28, 7, v29
	v_cmp_lt_u64_e32 vcc, s[18:19], v[4:5]
	v_cndmask_b32_e32 v28, v9, v28, vcc
	v_cndmask_b32_e64 v9, 0, 1, vcc
	v_lshrrev_b64 v[4:5], v9, v[4:5]
; %bb.271:
	s_andn2_saveexec_b64 s[0:1], s[0:1]
; %bb.272:
	v_bfe_u32 v28, v4, 23, 1
; %bb.273:
	s_or_b64 exec, exec, s[0:1]
	v_lshrrev_b64 v[4:5], 20, v[4:5]
	v_cmp_gt_i32_e32 vcc, 16, v28
	v_cndmask_b32_e32 v5, 0, v5, vcc
	v_cndmask_b32_e32 v4, 7, v4, vcc
	v_cmp_ne_u32_e32 vcc, 0, v28
	v_cmp_ne_u64_e64 s[0:1], 0, v[4:5]
	s_or_b64 s[0:1], vcc, s[0:1]
                                        ; implicit-def: $vgpr9
	s_and_saveexec_b64 s[18:19], s[0:1]
	s_xor_b64 s[0:1], exec, s[18:19]
; %bb.274:
	v_min_i32_e32 v5, 15, v28
	v_lshl_or_b32 v5, v5, 3, v8
	v_and_or_b32 v9, v4, 7, v5
                                        ; implicit-def: $vgpr8
; %bb.275:
	s_andn2_saveexec_b64 s[0:1], s[0:1]
; %bb.276:
	v_mov_b32_e32 v9, v8
; %bb.277:
	s_or_b64 exec, exec, s[0:1]
.LBB3_278:
	s_or_b64 exec, exec, s[16:17]
.LBB3_279:
	s_andn2_saveexec_b64 s[0:1], s[14:15]
	s_or_b64 exec, exec, s[0:1]
                                        ; implicit-def: $vgpr28
                                        ; implicit-def: $vgpr4_vgpr5
.LBB3_280:
	s_andn2_saveexec_b64 s[0:1], s[8:9]
; %bb.281:
	s_movk_i32 s8, 0x7f
	v_or_b32_sdwa v8, v28, s8 dst_sel:DWORD dst_unused:UNUSED_PAD src0_sel:BYTE_3 src1_sel:DWORD
	v_cmp_eq_u64_e32 vcc, 0, v[4:5]
	v_cndmask_b32_e32 v9, v8, v9, vcc
; %bb.282:
	s_or_b64 exec, exec, s[0:1]
	v_mov_b32_e32 v8, 0x240
	v_lshlrev_b64 v[4:5], 3, v[18:19]
	v_mad_i64_i32 v[18:19], s[0:1], s20, v8, v[20:21]
	v_add_co_u32_e32 v4, vcc, v18, v4
	v_addc_co_u32_e32 v5, vcc, v19, v5, vcc
	v_add_co_u32_e32 v2, vcc, v2, v1
	v_lshlrev_b16_e32 v1, 8, v13
	v_lshlrev_b16_e32 v8, 8, v9
	v_or_b32_sdwa v1, v15, v1 dst_sel:DWORD dst_unused:UNUSED_PAD src0_sel:BYTE_0 src1_sel:DWORD
	v_or_b32_sdwa v8, v11, v8 dst_sel:WORD_1 dst_unused:UNUSED_PAD src0_sel:BYTE_0 src1_sel:DWORD
	v_or_b32_sdwa v19, v1, v8 dst_sel:DWORD dst_unused:UNUSED_PAD src0_sel:WORD_0 src1_sel:DWORD
	v_lshlrev_b16_e32 v1, 8, v25
	v_lshlrev_b16_e32 v8, 8, v22
	v_or_b32_sdwa v1, v27, v1 dst_sel:DWORD dst_unused:UNUSED_PAD src0_sel:BYTE_0 src1_sel:DWORD
	v_or_b32_sdwa v8, v23, v8 dst_sel:WORD_1 dst_unused:UNUSED_PAD src0_sel:BYTE_0 src1_sel:DWORD
	v_or_b32_sdwa v18, v1, v8 dst_sel:DWORD dst_unused:UNUSED_PAD src0_sel:WORD_0 src1_sel:DWORD
	;; [unrolled: 5-line block ×3, first 2 shown]
	v_lshlrev_b16_e32 v1, 8, v10
	v_or_b32_sdwa v1, v7, v1 dst_sel:DWORD dst_unused:UNUSED_PAD src0_sel:BYTE_0 src1_sel:DWORD
	v_lshlrev_b16_e32 v7, 8, v14
	v_addc_co_u32_e32 v3, vcc, 0, v3, vcc
	v_or_b32_sdwa v7, v12, v7 dst_sel:WORD_1 dst_unused:UNUSED_PAD src0_sel:BYTE_0 src1_sel:DWORD
	v_and_b32_e32 v0, 3, v0
	v_or_b32_sdwa v16, v1, v7 dst_sel:DWORD dst_unused:UNUSED_PAD src0_sel:WORD_0 src1_sel:DWORD
	v_cmp_eq_u32_e32 vcc, 0, v0
	global_store_dwordx4 v[2:3], v[16:19], off
	s_and_saveexec_b64 s[0:1], vcc
	s_cbranch_execz .LBB3_284
; %bb.283:
	v_add_f32_e32 v1, 0x42fe0000, v6
	v_min_f32_e32 v1, 0x437f0000, v1
	v_max_f32_e32 v1, 0, v1
	v_cvt_i32_f32_e32 v2, v1
	v_lshrrev_b32_e32 v0, 2, v38
	v_add_co_u32_e32 v0, vcc, v4, v0
	v_addc_co_u32_e32 v1, vcc, 0, v5, vcc
	global_store_byte v[0:1], v2, off
.LBB3_284:
	s_or_b64 exec, exec, s[0:1]
	v_cmp_eq_u32_e32 vcc, 0, v38
	s_and_saveexec_b64 s[0:1], vcc
	s_cbranch_execz .LBB3_286
; %bb.285:
	v_mov_b32_e32 v0, 0
	global_store_byte v[4:5], v0, off offset:7
.LBB3_286:
	s_or_b64 exec, exec, s[0:1]
                                        ; implicit-def: $vgpr1
                                        ; implicit-def: $vgpr33
                                        ; implicit-def: $vgpr34
                                        ; implicit-def: $vgpr4
                                        ; implicit-def: $vgpr5
                                        ; implicit-def: $vgpr6
                                        ; implicit-def: $vgpr7
                                        ; implicit-def: $vgpr36
                                        ; implicit-def: $vgpr37
                                        ; implicit-def: $vgpr9
                                        ; implicit-def: $vgpr10
                                        ; implicit-def: $vgpr12
                                        ; implicit-def: $vgpr39
                                        ; implicit-def: $vgpr14
                                        ; implicit-def: $vgpr40
                                        ; implicit-def: $vgpr16
                                        ; implicit-def: $vgpr17
                                        ; implicit-def: $vgpr2_vgpr3
.LBB3_287:
	s_andn2_saveexec_b64 s[0:1], s[2:3]
                                        ; implicit-def: $vgpr35
	s_cbranch_execz .LBB3_289
; %bb.288:
	v_lshlrev_b32_e32 v0, 1, v1
	v_add_co_u32_e32 v18, vcc, v2, v0
	s_mov_b32 s0, 0x5040100
	v_addc_co_u32_e32 v19, vcc, 0, v3, vcc
	v_perm_b32 v3, v37, v36, s0
	v_perm_b32 v2, v7, v6, s0
	;; [unrolled: 1-line block ×4, first 2 shown]
	global_store_dwordx4 v[18:19], v[0:3], off offset:-448
	s_nop 0
	v_perm_b32 v3, v17, v16, s0
	v_perm_b32 v2, v40, v14, s0
	;; [unrolled: 1-line block ×4, first 2 shown]
	global_store_dwordx4 v[18:19], v[0:3], off offset:-432
.LBB3_289:
	s_or_b64 exec, exec, s[10:11]
                                        ; implicit-def: $vgpr2_vgpr3_vgpr4_vgpr5_vgpr6_vgpr7_vgpr8_vgpr9_vgpr10_vgpr11_vgpr12_vgpr13_vgpr14_vgpr15_vgpr16_vgpr17
                                        ; implicit-def: $vgpr34
                                        ; implicit-def: $vgpr36
                                        ; implicit-def: $vgpr1
	s_andn2_saveexec_b64 s[0:1], s[12:13]
	s_cbranch_execnz .LBB3_17
	s_branch .LBB3_18
	.section	.rodata,"a",@progbits
	.p2align	6, 0x0
	.amdhsa_kernel _ZN4vllm21deepseek_v4_fused_ops47fusedDeepseekV4QNormRopeKVRopeQuantInsertKernelIN3c104HalfELi64EEEvPKT_PS4_S6_PhPKlSA_PKffiiiii
		.amdhsa_group_segment_fixed_size 0
		.amdhsa_private_segment_fixed_size 0
		.amdhsa_kernarg_size 336
		.amdhsa_user_sgpr_count 6
		.amdhsa_user_sgpr_private_segment_buffer 1
		.amdhsa_user_sgpr_dispatch_ptr 0
		.amdhsa_user_sgpr_queue_ptr 0
		.amdhsa_user_sgpr_kernarg_segment_ptr 1
		.amdhsa_user_sgpr_dispatch_id 0
		.amdhsa_user_sgpr_flat_scratch_init 0
		.amdhsa_user_sgpr_kernarg_preload_length 0
		.amdhsa_user_sgpr_kernarg_preload_offset 0
		.amdhsa_user_sgpr_private_segment_size 0
		.amdhsa_uses_dynamic_stack 0
		.amdhsa_system_sgpr_private_segment_wavefront_offset 0
		.amdhsa_system_sgpr_workgroup_id_x 1
		.amdhsa_system_sgpr_workgroup_id_y 0
		.amdhsa_system_sgpr_workgroup_id_z 0
		.amdhsa_system_sgpr_workgroup_info 0
		.amdhsa_system_vgpr_workitem_id 0
		.amdhsa_next_free_vgpr 48
		.amdhsa_next_free_sgpr 28
		.amdhsa_accum_offset 48
		.amdhsa_reserve_vcc 1
		.amdhsa_reserve_flat_scratch 0
		.amdhsa_float_round_mode_32 0
		.amdhsa_float_round_mode_16_64 0
		.amdhsa_float_denorm_mode_32 3
		.amdhsa_float_denorm_mode_16_64 3
		.amdhsa_dx10_clamp 1
		.amdhsa_ieee_mode 1
		.amdhsa_fp16_overflow 0
		.amdhsa_tg_split 0
		.amdhsa_exception_fp_ieee_invalid_op 0
		.amdhsa_exception_fp_denorm_src 0
		.amdhsa_exception_fp_ieee_div_zero 0
		.amdhsa_exception_fp_ieee_overflow 0
		.amdhsa_exception_fp_ieee_underflow 0
		.amdhsa_exception_fp_ieee_inexact 0
		.amdhsa_exception_int_div_zero 0
	.end_amdhsa_kernel
	.section	.text._ZN4vllm21deepseek_v4_fused_ops47fusedDeepseekV4QNormRopeKVRopeQuantInsertKernelIN3c104HalfELi64EEEvPKT_PS4_S6_PhPKlSA_PKffiiiii,"axG",@progbits,_ZN4vllm21deepseek_v4_fused_ops47fusedDeepseekV4QNormRopeKVRopeQuantInsertKernelIN3c104HalfELi64EEEvPKT_PS4_S6_PhPKlSA_PKffiiiii,comdat
.Lfunc_end3:
	.size	_ZN4vllm21deepseek_v4_fused_ops47fusedDeepseekV4QNormRopeKVRopeQuantInsertKernelIN3c104HalfELi64EEEvPKT_PS4_S6_PhPKlSA_PKffiiiii, .Lfunc_end3-_ZN4vllm21deepseek_v4_fused_ops47fusedDeepseekV4QNormRopeKVRopeQuantInsertKernelIN3c104HalfELi64EEEvPKT_PS4_S6_PhPKlSA_PKffiiiii
                                        ; -- End function
	.section	.AMDGPU.csdata,"",@progbits
; Kernel info:
; codeLenInByte = 11612
; NumSgprs: 32
; NumVgprs: 48
; NumAgprs: 0
; TotalNumVgprs: 48
; ScratchSize: 0
; MemoryBound: 1
; FloatMode: 240
; IeeeMode: 1
; LDSByteSize: 0 bytes/workgroup (compile time only)
; SGPRBlocks: 3
; VGPRBlocks: 5
; NumSGPRsForWavesPerEU: 32
; NumVGPRsForWavesPerEU: 48
; AccumOffset: 48
; Occupancy: 8
; WaveLimiterHint : 1
; COMPUTE_PGM_RSRC2:SCRATCH_EN: 0
; COMPUTE_PGM_RSRC2:USER_SGPR: 6
; COMPUTE_PGM_RSRC2:TRAP_HANDLER: 0
; COMPUTE_PGM_RSRC2:TGID_X_EN: 1
; COMPUTE_PGM_RSRC2:TGID_Y_EN: 0
; COMPUTE_PGM_RSRC2:TGID_Z_EN: 0
; COMPUTE_PGM_RSRC2:TIDIG_COMP_CNT: 0
; COMPUTE_PGM_RSRC3_GFX90A:ACCUM_OFFSET: 11
; COMPUTE_PGM_RSRC3_GFX90A:TG_SPLIT: 0
	.section	.text._ZN4vllm21deepseek_v4_fused_ops47fusedDeepseekV4QNormRopeKVRopeQuantInsertKernelIN3c104HalfELi128EEEvPKT_PS4_S6_PhPKlSA_PKffiiiii,"axG",@progbits,_ZN4vllm21deepseek_v4_fused_ops47fusedDeepseekV4QNormRopeKVRopeQuantInsertKernelIN3c104HalfELi128EEEvPKT_PS4_S6_PhPKlSA_PKffiiiii,comdat
	.protected	_ZN4vllm21deepseek_v4_fused_ops47fusedDeepseekV4QNormRopeKVRopeQuantInsertKernelIN3c104HalfELi128EEEvPKT_PS4_S6_PhPKlSA_PKffiiiii ; -- Begin function _ZN4vllm21deepseek_v4_fused_ops47fusedDeepseekV4QNormRopeKVRopeQuantInsertKernelIN3c104HalfELi128EEEvPKT_PS4_S6_PhPKlSA_PKffiiiii
	.globl	_ZN4vllm21deepseek_v4_fused_ops47fusedDeepseekV4QNormRopeKVRopeQuantInsertKernelIN3c104HalfELi128EEEvPKT_PS4_S6_PhPKlSA_PKffiiiii
	.p2align	8
	.type	_ZN4vllm21deepseek_v4_fused_ops47fusedDeepseekV4QNormRopeKVRopeQuantInsertKernelIN3c104HalfELi128EEEvPKT_PS4_S6_PhPKlSA_PKffiiiii,@function
_ZN4vllm21deepseek_v4_fused_ops47fusedDeepseekV4QNormRopeKVRopeQuantInsertKernelIN3c104HalfELi128EEEvPKT_PS4_S6_PhPKlSA_PKffiiiii: ; @_ZN4vllm21deepseek_v4_fused_ops47fusedDeepseekV4QNormRopeKVRopeQuantInsertKernelIN3c104HalfELi128EEEvPKT_PS4_S6_PhPKlSA_PKffiiiii
; %bb.0:
	s_load_dword s0, s[4:5], 0x5c
	s_load_dwordx4 s[16:19], s[4:5], 0x38
	v_lshrrev_b32_e32 v1, 5, v0
	s_waitcnt lgkmcnt(0)
	s_bfe_u32 s0, s0, 0xb0005
	s_mul_i32 s6, s6, s0
	v_add_u32_e32 v1, s6, v1
	s_mov_b32 s0, 0xfe03f81
	v_mul_hi_i32 v2, v1, s0
	v_lshrrev_b32_e32 v3, 31, v2
	v_ashrrev_i32_e32 v2, 3, v2
	v_add_u32_e32 v34, v2, v3
	v_cmp_gt_i32_e32 vcc, s17, v34
	s_and_saveexec_b64 s[0:1], vcc
	s_cbranch_execz .LBB4_10
; %bb.1:
	s_load_dwordx2 s[20:21], s[4:5], 0x48
	v_lshl_add_u32 v2, v34, 7, v34
	v_sub_u32_e32 v36, v1, v2
	s_movk_i32 s0, 0x80
	v_cmp_eq_u32_e32 vcc, s0, v36
	v_cmp_ne_u32_e64 s[0:1], s0, v36
	v_cmp_gt_i32_e64 s[2:3], s18, v34
	s_or_b64 s[2:3], s[0:1], s[2:3]
	s_and_b64 exec, exec, s[2:3]
	s_cbranch_execz .LBB4_10
; %bb.2:
	s_load_dwordx2 s[6:7], s[4:5], 0x8
	s_load_dwordx8 s[8:15], s[4:5], 0x18
	v_cmp_gt_i32_e64 s[2:3], s19, v36
	s_xor_b64 s[22:23], s[0:1], -1
	v_and_b32_e32 v38, 31, v0
	s_or_b64 s[22:23], s[22:23], s[2:3]
	v_lshlrev_b32_e32 v1, 4, v38
	v_ashrrev_i32_e32 v35, 31, v34
                                        ; implicit-def: $vgpr11
                                        ; implicit-def: $vgpr19
	s_and_saveexec_b64 s[24:25], s[22:23]
	s_cbranch_execz .LBB4_11
; %bb.3:
                                        ; implicit-def: $vgpr2_vgpr3
	s_and_saveexec_b64 s[2:3], vcc
	s_xor_b64 s[26:27], exec, s[2:3]
	s_cbranch_execz .LBB4_5
; %bb.4:
	s_load_dwordx2 s[2:3], s[4:5], 0x10
	v_lshlrev_b64 v[2:3], 10, v[34:35]
	s_waitcnt lgkmcnt(0)
	v_mov_b32_e32 v4, s3
	v_add_co_u32_e64 v2, s[2:3], s2, v2
	v_addc_co_u32_e64 v3, s[2:3], v4, v3, s[2:3]
	v_lshlrev_b32_e32 v4, 1, v1
	v_add_co_u32_e64 v2, s[2:3], v2, v4
	v_addc_co_u32_e64 v3, s[2:3], 0, v3, s[2:3]
.LBB4_5:
	s_andn2_saveexec_b64 s[26:27], s[26:27]
	s_cbranch_execz .LBB4_7
; %bb.6:
	s_load_dwordx2 s[2:3], s[4:5], 0x0
	v_ashrrev_i32_e32 v37, 31, v36
	v_mad_i64_i32 v[2:3], s[4:5], v34, s19, v[36:37]
	v_lshlrev_b64 v[2:3], 10, v[2:3]
	v_lshl_or_b32 v2, v1, 1, v2
	s_waitcnt lgkmcnt(0)
	v_mov_b32_e32 v4, s3
	v_add_co_u32_e64 v2, s[2:3], s2, v2
	v_addc_co_u32_e64 v3, s[2:3], v4, v3, s[2:3]
.LBB4_7:
	s_or_b64 exec, exec, s[26:27]
	global_load_dwordx4 v[16:19], v[2:3], off offset:16
	global_load_dwordx4 v[8:11], v[2:3], off
	s_or_b64 exec, exec, s[24:25]
	s_and_saveexec_b64 s[2:3], s[22:23]
	s_xor_b64 s[4:5], exec, s[2:3]
	s_cbranch_execnz .LBB4_12
.LBB4_8:
	s_andn2_saveexec_b64 s[0:1], s[4:5]
	s_cbranch_execz .LBB4_10
.LBB4_9:
	v_lshlrev_b64 v[2:3], 17, v[34:35]
	v_ashrrev_i32_e32 v37, 31, v36
	s_waitcnt lgkmcnt(0)
	v_mov_b32_e32 v0, s7
	v_add_co_u32_e32 v4, vcc, s6, v2
	v_addc_co_u32_e32 v0, vcc, v0, v3, vcc
	v_lshlrev_b64 v[2:3], 10, v[36:37]
	v_add_co_u32_e32 v2, vcc, v4, v2
	v_addc_co_u32_e32 v0, vcc, v0, v3, vcc
	v_lshlrev_b32_e32 v1, 1, v1
	s_mov_b32 s0, 0
	v_add_co_u32_e32 v4, vcc, v2, v1
	s_mov_b32 s1, s0
	v_addc_co_u32_e32 v5, vcc, 0, v0, vcc
	s_mov_b32 s2, s0
	s_mov_b32 s3, s0
	v_pk_mov_b32 v[0:1], s[0:1], s[0:1] op_sel:[0,1]
	v_pk_mov_b32 v[2:3], s[2:3], s[2:3] op_sel:[0,1]
	global_store_dwordx4 v[4:5], v[0:3], off
	global_store_dwordx4 v[4:5], v[0:3], off offset:16
.LBB4_10:
	s_endpgm
.LBB4_11:
	s_or_b64 exec, exec, s[24:25]
	s_and_saveexec_b64 s[2:3], s[22:23]
	s_xor_b64 s[4:5], exec, s[2:3]
	s_cbranch_execz .LBB4_8
.LBB4_12:
	s_waitcnt vmcnt(0)
	v_cvt_f32_f16_sdwa v3, v8 dst_sel:DWORD dst_unused:UNUSED_PAD src0_sel:WORD_1
	v_cvt_f32_f16_e32 v2, v8
	v_cvt_f32_f16_sdwa v5, v9 dst_sel:DWORD dst_unused:UNUSED_PAD src0_sel:WORD_1
	v_cvt_f32_f16_e32 v4, v9
	;; [unrolled: 2-line block ×8, first 2 shown]
	s_and_saveexec_b64 s[2:3], s[0:1]
	s_cbranch_execz .LBB4_14
; %bb.13:
	v_pk_mul_f32 v[18:19], v[2:3], v[2:3]
	v_pk_mul_f32 v[20:21], v[4:5], v[4:5]
	v_add_f32_e32 v18, v18, v19
	v_add_f32_e32 v18, v20, v18
	v_pk_mul_f32 v[22:23], v[6:7], v[6:7]
	v_add_f32_e32 v18, v21, v18
	v_add_f32_e32 v18, v22, v18
	;; [unrolled: 3-line block ×4, first 2 shown]
	v_pk_mul_f32 v[28:29], v[12:13], v[12:13]
	v_add_f32_e32 v18, v27, v18
	v_mbcnt_lo_u32_b32 v19, -1, 0
	v_add_f32_e32 v18, v28, v18
	v_mbcnt_hi_u32_b32 v19, -1, v19
	v_pk_mul_f32 v[30:31], v[14:15], v[14:15]
	v_add_f32_e32 v18, v29, v18
	v_and_b32_e32 v20, 0x60, v19
	v_add_f32_e32 v18, v30, v18
	v_add_u32_e32 v20, 32, v20
	v_xor_b32_e32 v21, 16, v19
	v_pk_mul_f32 v[32:33], v[16:17], v[16:17]
	v_add_f32_e32 v18, v31, v18
	v_cmp_lt_i32_e64 s[0:1], v21, v20
	v_add_f32_e32 v18, v32, v18
	v_cndmask_b32_e64 v21, v19, v21, s[0:1]
	v_add_f32_e32 v18, v33, v18
	v_lshlrev_b32_e32 v21, 2, v21
	ds_bpermute_b32 v21, v21, v18
	s_waitcnt lgkmcnt(0)
	v_add_f32_e32 v18, v18, v21
	v_xor_b32_e32 v21, 8, v19
	v_cmp_lt_i32_e64 s[0:1], v21, v20
	v_cndmask_b32_e64 v21, v19, v21, s[0:1]
	v_lshlrev_b32_e32 v21, 2, v21
	ds_bpermute_b32 v21, v21, v18
	s_waitcnt lgkmcnt(0)
	v_add_f32_e32 v18, v18, v21
	v_xor_b32_e32 v21, 4, v19
	v_cmp_lt_i32_e64 s[0:1], v21, v20
	v_cndmask_b32_e64 v21, v19, v21, s[0:1]
	;; [unrolled: 7-line block ×4, first 2 shown]
	v_lshlrev_b32_e32 v19, 2, v19
	ds_bpermute_b32 v19, v19, v18
	s_mov_b32 s0, 0x800000
	s_waitcnt lgkmcnt(0)
	v_add_f32_e32 v18, v18, v19
	v_mov_b32_e32 v19, s16
	v_fmac_f32_e32 v19, 0x3b000000, v18
	v_mul_f32_e32 v18, 0x4b800000, v19
	v_cmp_gt_f32_e64 s[0:1], s0, v19
	v_cndmask_b32_e64 v18, v19, v18, s[0:1]
	v_rsq_f32_e32 v18, v18
	v_mul_f32_e32 v19, 0x45800000, v18
	v_cndmask_b32_e64 v18, v18, v19, s[0:1]
	v_pk_mul_f32 v[16:17], v[18:19], v[16:17] op_sel_hi:[0,1]
	v_pk_mul_f32 v[14:15], v[18:19], v[14:15] op_sel_hi:[0,1]
	v_pk_mul_f32 v[12:13], v[18:19], v[12:13] op_sel_hi:[0,1]
	v_pk_mul_f32 v[10:11], v[18:19], v[10:11] op_sel_hi:[0,1]
	v_pk_mul_f32 v[8:9], v[18:19], v[8:9] op_sel_hi:[0,1]
	v_pk_mul_f32 v[6:7], v[18:19], v[6:7] op_sel_hi:[0,1]
	v_pk_mul_f32 v[4:5], v[18:19], v[4:5] op_sel_hi:[0,1]
	v_pk_mul_f32 v[2:3], v[18:19], v[2:3] op_sel_hi:[0,1]
.LBB4_14:
	s_or_b64 exec, exec, s[2:3]
	v_cmp_gt_u32_e64 s[0:1], 28, v38
	v_cmp_lt_u32_e64 s[2:3], 27, v38
	s_and_saveexec_b64 s[16:17], s[2:3]
	s_cbranch_execz .LBB4_19
; %bb.15:
	v_lshlrev_b64 v[18:19], 3, v[34:35]
	s_waitcnt lgkmcnt(0)
	v_mov_b32_e32 v20, s13
	v_add_co_u32_e64 v18, s[2:3], s12, v18
	v_addc_co_u32_e64 v19, s[2:3], v20, v19, s[2:3]
	global_load_dwordx2 v[18:19], v[18:19], off
	v_add_u32_e32 v20, 0xfffffe40, v1
	v_mov_b32_e32 v22, s15
	v_mov_b32_e32 v21, 0
	v_lshrrev_b32_e32 v20, 1, v20
	v_lshlrev_b64 v[20:21], 2, v[20:21]
	s_waitcnt vmcnt(0)
	v_lshlrev_b64 v[18:19], 8, v[18:19]
	v_add_co_u32_e64 v18, s[2:3], s14, v18
	v_addc_co_u32_e64 v19, s[2:3], v22, v19, s[2:3]
	v_add_co_u32_e64 v18, s[2:3], v18, v20
	v_addc_co_u32_e64 v19, s[2:3], v19, v21, s[2:3]
	global_load_dwordx4 v[22:25], v[18:19], off offset:128
	global_load_dwordx4 v[30:33], v[18:19], off offset:144
	global_load_dwordx4 v[40:43], v[18:19], off
	global_load_dwordx4 v[44:47], v[18:19], off offset:16
	s_waitcnt vmcnt(3)
	v_mul_f32_e32 v18, v3, v22
	v_mul_f32_e32 v19, v2, v22
	;; [unrolled: 1-line block ×8, first 2 shown]
	s_waitcnt vmcnt(2)
	v_mul_f32_e32 v26, v11, v30
	v_mul_f32_e32 v27, v10, v30
	;; [unrolled: 1-line block ×8, first 2 shown]
	s_waitcnt vmcnt(1)
	v_fma_f32 v18, v2, v40, -v18
	v_fmac_f32_e32 v19, v3, v40
	v_fma_f32 v20, v4, v41, -v20
	v_fmac_f32_e32 v21, v5, v41
	;; [unrolled: 2-line block ×4, first 2 shown]
	s_waitcnt vmcnt(0)
	v_fma_f32 v26, v10, v44, -v26
	v_fmac_f32_e32 v27, v11, v44
	v_fma_f32 v28, v12, v45, -v28
	v_fmac_f32_e32 v29, v13, v45
	;; [unrolled: 2-line block ×4, first 2 shown]
	v_pk_mov_b32 v[2:3], v[18:19], v[18:19] op_sel:[0,1]
	v_pk_mov_b32 v[4:5], v[20:21], v[20:21] op_sel:[0,1]
	;; [unrolled: 1-line block ×8, first 2 shown]
	s_or_b64 exec, exec, s[16:17]
	s_and_saveexec_b64 s[2:3], vcc
	s_xor_b64 s[12:13], exec, s[2:3]
	s_cbranch_execnz .LBB4_20
.LBB4_16:
	s_andn2_saveexec_b64 s[0:1], s[12:13]
	s_cbranch_execz .LBB4_18
.LBB4_17:
	v_cvt_f16_f32_e32 v0, v2
	v_cvt_f16_f32_e32 v18, v3
	v_lshlrev_b64 v[2:3], 17, v[34:35]
	v_cvt_f16_f32_e32 v19, v4
	v_cvt_f16_f32_e32 v20, v5
	v_ashrrev_i32_e32 v37, 31, v36
	v_mov_b32_e32 v4, s7
	v_add_co_u32_e32 v5, vcc, s6, v2
	v_cvt_f16_f32_e32 v6, v6
	v_cvt_f16_f32_e32 v7, v7
	;; [unrolled: 1-line block ×4, first 2 shown]
	v_addc_co_u32_e32 v4, vcc, v4, v3, vcc
	v_lshlrev_b64 v[2:3], 10, v[36:37]
	v_cvt_f16_f32_e32 v10, v10
	v_cvt_f16_f32_e32 v11, v11
	v_cvt_f16_f32_e32 v12, v12
	v_cvt_f16_f32_e32 v13, v13
	v_cvt_f16_f32_e32 v14, v14
	v_cvt_f16_f32_e32 v15, v15
	v_cvt_f16_f32_e32 v16, v16
	v_cvt_f16_f32_e32 v17, v17
	v_add_co_u32_e32 v2, vcc, v5, v2
	v_addc_co_u32_e32 v3, vcc, v4, v3, vcc
	v_lshlrev_b32_e32 v1, 1, v1
	v_add_co_u32_e32 v4, vcc, v2, v1
	v_addc_co_u32_e32 v5, vcc, 0, v3, vcc
	v_pack_b32_f16 v3, v8, v9
	v_pack_b32_f16 v2, v6, v7
	;; [unrolled: 1-line block ×4, first 2 shown]
	global_store_dwordx4 v[4:5], v[0:3], off
	s_nop 0
	v_pack_b32_f16 v3, v16, v17
	v_pack_b32_f16 v2, v14, v15
	;; [unrolled: 1-line block ×4, first 2 shown]
	global_store_dwordx4 v[4:5], v[0:3], off offset:16
.LBB4_18:
	s_or_b64 exec, exec, s[0:1]
                                        ; implicit-def: $vgpr34
                                        ; implicit-def: $vgpr36
                                        ; implicit-def: $vgpr1
	s_andn2_saveexec_b64 s[0:1], s[4:5]
	s_cbranch_execnz .LBB4_9
	s_branch .LBB4_10
.LBB4_19:
	s_or_b64 exec, exec, s[16:17]
	s_and_saveexec_b64 s[2:3], vcc
	s_waitcnt lgkmcnt(0)
	s_xor_b64 s[12:13], exec, s[2:3]
	s_cbranch_execz .LBB4_16
.LBB4_20:
	v_lshlrev_b64 v[18:19], 3, v[34:35]
	v_mov_b32_e32 v20, s11
	v_add_co_u32_e32 v18, vcc, s10, v18
	v_addc_co_u32_e32 v19, vcc, v20, v19, vcc
	global_load_dwordx2 v[18:19], v[18:19], off
	s_waitcnt vmcnt(0)
	v_cmp_lt_i64_e32 vcc, -1, v[18:19]
	s_and_saveexec_b64 s[10:11], vcc
                                        ; implicit-def: $vgpr35
	s_cbranch_execz .LBB4_289
; %bb.21:
	s_ashr_i32 s22, s20, 31
	v_or_b32_e32 v21, s22, v19
	v_mov_b32_e32 v20, 0
	v_cmp_ne_u64_e32 vcc, 0, v[20:21]
                                        ; implicit-def: $vgpr22_vgpr23
	s_and_saveexec_b64 s[2:3], vcc
	s_xor_b64 s[14:15], exec, s[2:3]
	s_cbranch_execz .LBB4_23
; %bb.22:
	s_add_u32 s2, s20, s22
	s_mov_b32 s16, s22
	s_mov_b32 s17, s22
	s_addc_u32 s3, s22, s22
	s_xor_b64 s[18:19], s[2:3], s[16:17]
	v_cvt_f32_u32_e32 v20, s18
	v_cvt_f32_u32_e32 v21, s19
	s_sub_u32 s2, 0, s18
	s_subb_u32 s3, 0, s19
	v_madmk_f32 v20, v21, 0x4f800000, v20
	v_rcp_f32_e32 v20, v20
	v_mul_f32_e32 v20, 0x5f7ffffc, v20
	v_mul_f32_e32 v21, 0x2f800000, v20
	v_trunc_f32_e32 v21, v21
	v_madmk_f32 v20, v21, 0xcf800000, v20
	v_cvt_u32_f32_e32 v21, v21
	v_cvt_u32_f32_e32 v20, v20
	v_mul_lo_u32 v22, s2, v21
	v_mul_hi_u32 v24, s2, v20
	v_mul_lo_u32 v23, s3, v20
	v_add_u32_e32 v22, v24, v22
	v_mul_lo_u32 v25, s2, v20
	v_add_u32_e32 v22, v22, v23
	v_mul_lo_u32 v24, v20, v22
	v_mul_hi_u32 v26, v20, v25
	v_mul_hi_u32 v23, v20, v22
	v_add_co_u32_e32 v24, vcc, v26, v24
	v_addc_co_u32_e32 v23, vcc, 0, v23, vcc
	v_mul_hi_u32 v27, v21, v25
	v_mul_lo_u32 v25, v21, v25
	v_add_co_u32_e32 v24, vcc, v24, v25
	v_mul_hi_u32 v26, v21, v22
	v_addc_co_u32_e32 v23, vcc, v23, v27, vcc
	v_addc_co_u32_e32 v24, vcc, 0, v26, vcc
	v_mul_lo_u32 v22, v21, v22
	v_add_co_u32_e32 v22, vcc, v23, v22
	v_addc_co_u32_e32 v23, vcc, 0, v24, vcc
	v_add_co_u32_e32 v20, vcc, v20, v22
	v_addc_co_u32_e32 v21, vcc, v21, v23, vcc
	v_mul_lo_u32 v22, s2, v21
	v_mul_hi_u32 v23, s2, v20
	v_add_u32_e32 v22, v23, v22
	v_mul_lo_u32 v23, s3, v20
	v_add_u32_e32 v22, v22, v23
	v_mul_lo_u32 v24, s2, v20
	v_mul_hi_u32 v25, v21, v24
	v_mul_lo_u32 v26, v21, v24
	v_mul_lo_u32 v28, v20, v22
	v_mul_hi_u32 v24, v20, v24
	v_mul_hi_u32 v27, v20, v22
	v_add_co_u32_e32 v24, vcc, v24, v28
	v_addc_co_u32_e32 v27, vcc, 0, v27, vcc
	v_add_co_u32_e32 v24, vcc, v24, v26
	v_mul_hi_u32 v23, v21, v22
	v_addc_co_u32_e32 v24, vcc, v27, v25, vcc
	v_addc_co_u32_e32 v23, vcc, 0, v23, vcc
	v_mul_lo_u32 v22, v21, v22
	v_add_co_u32_e32 v22, vcc, v24, v22
	v_addc_co_u32_e32 v23, vcc, 0, v23, vcc
	v_add_co_u32_e32 v22, vcc, v20, v22
	v_addc_co_u32_e32 v23, vcc, v21, v23, vcc
	v_ashrrev_i32_e32 v24, 31, v19
	v_add_co_u32_e32 v20, vcc, v18, v24
	v_addc_co_u32_e32 v21, vcc, v19, v24, vcc
	v_xor_b32_e32 v26, v20, v24
	v_xor_b32_e32 v25, v21, v24
	v_mad_u64_u32 v[20:21], s[2:3], v26, v23, 0
	v_mul_hi_u32 v27, v26, v22
	v_add_co_u32_e32 v27, vcc, v27, v20
	v_addc_co_u32_e32 v28, vcc, 0, v21, vcc
	v_mad_u64_u32 v[20:21], s[2:3], v25, v23, 0
	v_mad_u64_u32 v[22:23], s[2:3], v25, v22, 0
	v_add_co_u32_e32 v22, vcc, v27, v22
	v_addc_co_u32_e32 v22, vcc, v28, v23, vcc
	v_addc_co_u32_e32 v21, vcc, 0, v21, vcc
	v_add_co_u32_e32 v22, vcc, v22, v20
	v_addc_co_u32_e32 v23, vcc, 0, v21, vcc
	v_mul_lo_u32 v27, s19, v22
	v_mul_lo_u32 v28, s18, v23
	v_mad_u64_u32 v[20:21], s[2:3], s18, v22, 0
	v_add3_u32 v21, v21, v28, v27
	v_sub_u32_e32 v27, v25, v21
	v_mov_b32_e32 v28, s19
	v_sub_co_u32_e32 v20, vcc, v26, v20
	v_subb_co_u32_e64 v26, s[2:3], v27, v28, vcc
	v_subrev_co_u32_e64 v27, s[2:3], s18, v20
	v_subbrev_co_u32_e64 v26, s[2:3], 0, v26, s[2:3]
	v_cmp_le_u32_e64 s[2:3], s19, v26
	v_cndmask_b32_e64 v28, 0, -1, s[2:3]
	v_cmp_le_u32_e64 s[2:3], s18, v27
	v_cndmask_b32_e64 v27, 0, -1, s[2:3]
	v_cmp_eq_u32_e64 s[2:3], s19, v26
	v_cndmask_b32_e64 v26, v28, v27, s[2:3]
	v_add_co_u32_e64 v27, s[2:3], 2, v22
	v_subb_co_u32_e32 v21, vcc, v25, v21, vcc
	v_addc_co_u32_e64 v28, s[2:3], 0, v23, s[2:3]
	v_cmp_le_u32_e32 vcc, s19, v21
	v_add_co_u32_e64 v29, s[2:3], 1, v22
	v_cndmask_b32_e64 v25, 0, -1, vcc
	v_cmp_le_u32_e32 vcc, s18, v20
	v_addc_co_u32_e64 v30, s[2:3], 0, v23, s[2:3]
	v_cndmask_b32_e64 v20, 0, -1, vcc
	v_cmp_eq_u32_e32 vcc, s19, v21
	v_cmp_ne_u32_e64 s[2:3], 0, v26
	v_cndmask_b32_e32 v20, v25, v20, vcc
	v_cmp_ne_u32_e32 vcc, 0, v20
	v_cndmask_b32_e64 v21, v29, v27, s[2:3]
	v_cndmask_b32_e64 v26, v30, v28, s[2:3]
	v_cndmask_b32_e32 v21, v22, v21, vcc
	v_xor_b32_e32 v22, s16, v24
	v_cndmask_b32_e32 v20, v23, v26, vcc
	v_xor_b32_e32 v23, s17, v24
	v_xor_b32_e32 v21, v21, v22
	v_xor_b32_e32 v20, v20, v23
	v_sub_co_u32_e32 v22, vcc, v21, v22
	v_subb_co_u32_e32 v23, vcc, v20, v23, vcc
.LBB4_23:
	s_andn2_saveexec_b64 s[2:3], s[14:15]
	s_cbranch_execz .LBB4_25
; %bb.24:
	v_cvt_f32_u32_e32 v20, s20
	s_sub_i32 s14, 0, s20
	v_rcp_iflag_f32_e32 v20, v20
	v_mul_f32_e32 v20, 0x4f7ffffe, v20
	v_cvt_u32_f32_e32 v20, v20
	v_mul_lo_u32 v21, s14, v20
	v_mul_hi_u32 v21, v20, v21
	v_add_u32_e32 v20, v20, v21
	v_mul_hi_u32 v20, v18, v20
	v_mul_lo_u32 v21, v20, s20
	v_sub_u32_e32 v21, v18, v21
	v_add_u32_e32 v22, 1, v20
	v_subrev_u32_e32 v23, s20, v21
	v_cmp_le_u32_e32 vcc, s20, v21
	v_cndmask_b32_e32 v21, v21, v23, vcc
	v_cndmask_b32_e32 v20, v20, v22, vcc
	v_add_u32_e32 v22, 1, v20
	v_cmp_le_u32_e32 vcc, s20, v21
	v_cndmask_b32_e32 v22, v20, v22, vcc
	v_mov_b32_e32 v23, 0
.LBB4_25:
	s_or_b64 exec, exec, s[2:3]
	v_cvt_f16_f32_e32 v33, v2
	v_cvt_f16_f32_e32 v34, v3
	;; [unrolled: 1-line block ×8, first 2 shown]
	v_cvt_f32_f16_e32 v35, v33
	v_cvt_f32_f16_e32 v32, v34
	v_cvt_f16_f32_e32 v9, v10
	v_cvt_f16_f32_e32 v10, v11
	v_cvt_f32_f16_e32 v31, v4
	v_cvt_f32_f16_e32 v30, v5
	v_cvt_f16_f32_e32 v12, v12
	v_cvt_f16_f32_e32 v39, v13
	v_mul_lo_u32 v24, v23, s20
	v_mul_lo_u32 v25, v22, s22
	v_mad_u64_u32 v[20:21], s[2:3], v22, s20, 0
	v_cvt_f32_f16_e32 v29, v6
	v_cvt_f32_f16_e32 v28, v7
	v_cvt_f16_f32_e32 v14, v14
	v_cvt_f16_f32_e32 v40, v15
	v_add3_u32 v21, v21, v25, v24
	v_sub_co_u32_e32 v18, vcc, v18, v20
	v_cvt_f32_f16_e32 v24, v36
	v_cvt_f32_f16_e32 v26, v37
	v_cvt_f16_f32_e32 v16, v16
	v_cvt_f16_f32_e32 v17, v17
	v_subb_co_u32_e32 v19, vcc, v19, v21, vcc
	s_ashr_i32 s14, s21, 31
	v_pk_mov_b32 v[20:21], s[8:9], s[8:9] op_sel:[0,1]
	v_cvt_f32_f16_e32 v27, v9
	v_cvt_f32_f16_e32 v25, v10
	v_max3_f32 v2, |v35|, 0, |v32|
	v_mad_u64_u32 v[20:21], s[2:3], v22, s21, v[20:21]
	v_mul_lo_u32 v41, v23, s21
	v_mul_lo_u32 v42, v22, s14
	v_cvt_f32_f16_e32 v23, v12
	v_cvt_f32_f16_e32 v22, v39
	v_max3_f32 v2, v2, |v31|, |v30|
	v_cvt_f32_f16_e32 v15, v14
	v_cvt_f32_f16_e32 v13, v40
	v_max3_f32 v2, v2, |v29|, |v28|
	;; [unrolled: 3-line block ×3, first 2 shown]
	v_max3_f32 v2, v2, |v27|, |v25|
	v_max3_f32 v2, v2, |v23|, |v22|
	;; [unrolled: 1-line block ×4, first 2 shown]
	v_mbcnt_lo_u32_b32 v2, -1, 0
	v_mbcnt_hi_u32_b32 v44, -1, v2
	v_and_b32_e32 v3, 64, v44
	v_xor_b32_e32 v2, 1, v44
	v_add_u32_e32 v45, 64, v3
	v_cmp_lt_i32_e32 vcc, v2, v45
	v_cndmask_b32_e32 v2, v44, v2, vcc
	v_lshlrev_b32_e32 v2, 2, v2
	ds_bpermute_b32 v46, v2, v43
	v_add3_u32 v21, v41, v21, v42
	v_xor_b32_e32 v42, 2, v44
	v_cmp_lt_i32_e32 vcc, v42, v45
	v_cndmask_b32_e32 v42, v44, v42, vcc
	s_waitcnt lgkmcnt(0)
	v_max_f32_e32 v41, v46, v46
	v_max_f32_e32 v41, v43, v41
	v_lshlrev_b32_e32 v42, 2, v42
	s_movk_i32 s8, 0x240
	ds_bpermute_b32 v42, v42, v41
	v_mad_u64_u32 v[2:3], s[2:3], v18, s8, v[20:21]
	v_mov_b32_e32 v44, v3
	v_mad_u64_u32 v[44:45], s[2:3], v19, s8, v[44:45]
	v_mov_b32_e32 v3, v44
	s_and_saveexec_b64 s[2:3], s[0:1]
	s_xor_b64 s[2:3], exec, s[2:3]
	s_cbranch_execz .LBB4_287
; %bb.26:
	s_mov_b32 s0, 0x38d1b717
	s_waitcnt lgkmcnt(0)
	v_max3_f32 v4, v41, v42, s0
	s_mov_b32 s8, 0x43e00000
	v_div_scale_f32 v5, s[0:1], s8, s8, v4
	v_rcp_f32_e32 v6, v5
	s_mov_b32 s0, 0x800000
	v_fma_f32 v7, -v5, v6, 1.0
	v_fmac_f32_e32 v6, v7, v6
	v_div_scale_f32 v7, vcc, v4, s8, v4
	v_mul_f32_e32 v9, v7, v6
	v_fma_f32 v10, -v5, v9, v7
	v_fmac_f32_e32 v9, v10, v6
	v_fma_f32 v5, -v5, v9, v7
	v_div_fmas_f32 v5, v5, v6, v9
	v_div_fixup_f32 v4, v5, s8, v4
	v_mov_b32_e32 v5, 0x4f800000
	v_cmp_gt_f32_e32 vcc, s0, v4
	v_cndmask_b32_e32 v5, 1.0, v5, vcc
	v_mul_f32_e32 v4, v4, v5
	v_log_f32_e32 v4, v4
	v_mov_b32_e32 v5, 0x42000000
	v_cndmask_b32_e32 v5, 0, v5, vcc
	s_mov_b32 s0, 0x42fc0000
	v_sub_f32_e32 v4, v4, v5
	v_ceil_f32_e32 v6, v4
	v_mov_b32_e32 v4, 0x42800000
	v_cmp_lt_f32_e32 vcc, s0, v6
	v_cndmask_b32_e32 v4, 0, v4, vcc
	v_sub_f32_e32 v4, v4, v6
	v_exp_f32_e32 v4, v4
	v_mov_b32_e32 v5, 0x1f800000
	v_cndmask_b32_e32 v5, 1.0, v5, vcc
	s_movk_i32 s0, 0x80
	v_mul_f32_e32 v9, v4, v5
	v_mul_f32_e32 v4, v9, v35
	v_max_f32_e32 v4, 0xc3e00000, v4
	v_min_f32_e32 v12, 0x43e00000, v4
	v_mov_b32_e32 v5, 0
	v_and_b32_sdwa v10, v12, s0 dst_sel:DWORD dst_unused:UNUSED_PAD src0_sel:BYTE_3 src1_sel:DWORD
	v_and_b32_e32 v16, 0x7f800000, v12
	v_mov_b32_e32 v17, v5
	s_mov_b64 s[0:1], 0x7f800000
	v_and_b32_e32 v4, 0x7fffff, v12
	v_or_b32_e32 v7, 0x7e, v10
	v_cmp_ne_u64_e32 vcc, s[0:1], v[16:17]
	s_and_saveexec_b64 s[0:1], vcc
	s_xor_b64 s[8:9], exec, s[0:1]
	s_cbranch_execz .LBB4_40
; %bb.27:
	v_and_b32_e32 v16, 0x7fffffff, v12
	v_mov_b32_e32 v17, v5
	s_mov_b64 s[0:1], 0x43e00001
	v_cmp_gt_u64_e32 vcc, s[0:1], v[16:17]
	s_and_saveexec_b64 s[0:1], vcc
	s_xor_b64 s[14:15], exec, s[0:1]
	s_cbranch_execz .LBB4_39
; %bb.28:
	v_cmp_ne_u32_e32 vcc, 0, v12
	v_mov_b32_e32 v7, 0
	s_and_saveexec_b64 s[16:17], vcc
	s_cbranch_execz .LBB4_38
; %bb.29:
	v_bfe_u32 v7, v12, 23, 8
	s_movk_i32 s0, 0x7a
	v_sub_u32_e32 v14, 0x79, v7
	v_cmp_gt_u32_e32 vcc, s0, v7
	v_add_u32_e32 v12, 0xffffff81, v7
	v_cndmask_b32_e32 v14, 0, v14, vcc
	v_mov_b32_e32 v17, 0xffffff82
	v_cmp_eq_u32_e32 vcc, 0, v7
	v_cndmask_b32_e32 v7, v12, v17, vcc
	v_mov_b32_e32 v12, 0x78
	v_cndmask_b32_e32 v12, v14, v12, vcc
	v_or_b32_e32 v16, 0x800000, v4
	v_add_u32_e32 v14, 20, v12
	v_cndmask_b32_e32 v4, v16, v4, vcc
	v_lshlrev_b64 v[16:17], v14, -1
	v_not_b32_e32 v14, v17
	v_not_b32_e32 v16, v16
	v_and_b32_e32 v17, 0, v14
	v_and_b32_e32 v16, v4, v16
	v_add_u32_e32 v14, 19, v12
	v_lshrrev_b64 v[4:5], v12, v[4:5]
	v_lshlrev_b64 v[34:35], v14, 1
	v_lshrrev_b32_e32 v14, 23, v4
	v_add3_u32 v14, v12, v7, v14
	v_bfe_u32 v12, v4, 20, 1
	v_add_u32_e32 v12, -1, v12
	v_cmp_eq_u64_e32 vcc, v[16:17], v[34:35]
	v_cndmask_b32_e32 v12, 0, v12, vcc
	v_add_u32_e32 v12, v12, v4
	v_and_b32_e32 v12, 0xfffff, v12
	v_add_co_u32_e32 v4, vcc, v12, v4
	v_add_u32_e32 v7, 6, v14
	v_addc_co_u32_e32 v5, vcc, 0, v5, vcc
	v_cmp_ne_u32_e32 vcc, 0, v7
                                        ; implicit-def: $vgpr12
	s_and_saveexec_b64 s[0:1], vcc
	s_xor_b64 s[0:1], exec, s[0:1]
; %bb.30:
	s_mov_b64 s[18:19], 0xffffff
	v_add_u32_e32 v12, 7, v14
	v_cmp_lt_u64_e32 vcc, s[18:19], v[4:5]
	v_cndmask_b32_e32 v12, v7, v12, vcc
	v_cndmask_b32_e64 v7, 0, 1, vcc
	v_lshrrev_b64 v[4:5], v7, v[4:5]
; %bb.31:
	s_andn2_saveexec_b64 s[0:1], s[0:1]
; %bb.32:
	v_bfe_u32 v12, v4, 23, 1
; %bb.33:
	s_or_b64 exec, exec, s[0:1]
	v_lshrrev_b64 v[4:5], 20, v[4:5]
	v_cmp_gt_i32_e32 vcc, 16, v12
	v_cndmask_b32_e32 v5, 0, v5, vcc
	v_cndmask_b32_e32 v4, 7, v4, vcc
	v_cmp_ne_u32_e32 vcc, 0, v12
	v_cmp_ne_u64_e64 s[0:1], 0, v[4:5]
	s_or_b64 s[0:1], vcc, s[0:1]
                                        ; implicit-def: $vgpr7
	s_and_saveexec_b64 s[18:19], s[0:1]
	s_xor_b64 s[0:1], exec, s[18:19]
; %bb.34:
	v_min_i32_e32 v5, 15, v12
	v_lshl_or_b32 v5, v5, 3, v10
	v_and_or_b32 v7, v4, 7, v5
                                        ; implicit-def: $vgpr10
; %bb.35:
	s_andn2_saveexec_b64 s[0:1], s[0:1]
; %bb.36:
	v_mov_b32_e32 v7, v10
; %bb.37:
	s_or_b64 exec, exec, s[0:1]
.LBB4_38:
	s_or_b64 exec, exec, s[16:17]
.LBB4_39:
	s_andn2_saveexec_b64 s[0:1], s[14:15]
	s_or_b64 exec, exec, s[0:1]
                                        ; implicit-def: $vgpr12
                                        ; implicit-def: $vgpr4_vgpr5
.LBB4_40:
	s_andn2_saveexec_b64 s[0:1], s[8:9]
; %bb.41:
	s_movk_i32 s8, 0x7f
	v_or_b32_sdwa v10, v12, s8 dst_sel:DWORD dst_unused:UNUSED_PAD src0_sel:BYTE_3 src1_sel:DWORD
	v_cmp_eq_u64_e32 vcc, 0, v[4:5]
	v_cndmask_b32_e32 v7, v10, v7, vcc
; %bb.42:
	s_or_b64 exec, exec, s[0:1]
	v_mul_f32_e32 v4, v9, v32
	v_max_f32_e32 v4, 0xc3e00000, v4
	v_min_f32_e32 v14, 0x43e00000, v4
	v_mov_b32_e32 v5, 0
	s_movk_i32 s0, 0x80
	v_and_b32_sdwa v12, v14, s0 dst_sel:DWORD dst_unused:UNUSED_PAD src0_sel:BYTE_3 src1_sel:DWORD
	v_and_b32_e32 v16, 0x7f800000, v14
	v_mov_b32_e32 v17, v5
	s_mov_b64 s[0:1], 0x7f800000
	v_and_b32_e32 v4, 0x7fffff, v14
	v_or_b32_e32 v10, 0x7e, v12
	v_cmp_ne_u64_e32 vcc, s[0:1], v[16:17]
	s_and_saveexec_b64 s[0:1], vcc
	s_xor_b64 s[8:9], exec, s[0:1]
	s_cbranch_execz .LBB4_56
; %bb.43:
	v_and_b32_e32 v16, 0x7fffffff, v14
	v_mov_b32_e32 v17, v5
	s_mov_b64 s[0:1], 0x43e00001
	v_cmp_gt_u64_e32 vcc, s[0:1], v[16:17]
	s_and_saveexec_b64 s[0:1], vcc
	s_xor_b64 s[14:15], exec, s[0:1]
	s_cbranch_execz .LBB4_55
; %bb.44:
	v_cmp_ne_u32_e32 vcc, 0, v14
	v_mov_b32_e32 v10, 0
	s_and_saveexec_b64 s[16:17], vcc
	s_cbranch_execz .LBB4_54
; %bb.45:
	v_bfe_u32 v10, v14, 23, 8
	s_movk_i32 s0, 0x7a
	v_sub_u32_e32 v16, 0x79, v10
	v_cmp_gt_u32_e32 vcc, s0, v10
	v_add_u32_e32 v14, 0xffffff81, v10
	v_cndmask_b32_e32 v16, 0, v16, vcc
	v_mov_b32_e32 v32, 0xffffff82
	v_cmp_eq_u32_e32 vcc, 0, v10
	v_cndmask_b32_e32 v10, v14, v32, vcc
	v_mov_b32_e32 v14, 0x78
	v_cndmask_b32_e32 v14, v16, v14, vcc
	v_or_b32_e32 v17, 0x800000, v4
	v_add_u32_e32 v16, 20, v14
	v_cndmask_b32_e32 v4, v17, v4, vcc
	v_lshlrev_b64 v[16:17], v16, -1
	v_not_b32_e32 v16, v16
	v_and_b32_e32 v32, v4, v16
	v_add_u32_e32 v16, 19, v14
	v_lshrrev_b64 v[4:5], v14, v[4:5]
	v_not_b32_e32 v17, v17
	v_lshlrev_b64 v[34:35], v16, 1
	v_lshrrev_b32_e32 v16, 23, v4
	v_and_b32_e32 v33, 0, v17
	v_add3_u32 v16, v14, v10, v16
	v_bfe_u32 v14, v4, 20, 1
	v_add_u32_e32 v14, -1, v14
	v_cmp_eq_u64_e32 vcc, v[32:33], v[34:35]
	v_cndmask_b32_e32 v14, 0, v14, vcc
	v_add_u32_e32 v14, v14, v4
	v_and_b32_e32 v14, 0xfffff, v14
	v_add_co_u32_e32 v4, vcc, v14, v4
	v_add_u32_e32 v10, 6, v16
	v_addc_co_u32_e32 v5, vcc, 0, v5, vcc
	v_cmp_ne_u32_e32 vcc, 0, v10
                                        ; implicit-def: $vgpr14
	s_and_saveexec_b64 s[0:1], vcc
	s_xor_b64 s[0:1], exec, s[0:1]
; %bb.46:
	s_mov_b64 s[18:19], 0xffffff
	v_add_u32_e32 v14, 7, v16
	v_cmp_lt_u64_e32 vcc, s[18:19], v[4:5]
	v_cndmask_b32_e32 v14, v10, v14, vcc
	v_cndmask_b32_e64 v10, 0, 1, vcc
	v_lshrrev_b64 v[4:5], v10, v[4:5]
; %bb.47:
	s_andn2_saveexec_b64 s[0:1], s[0:1]
; %bb.48:
	v_bfe_u32 v14, v4, 23, 1
; %bb.49:
	s_or_b64 exec, exec, s[0:1]
	v_lshrrev_b64 v[4:5], 20, v[4:5]
	v_cmp_gt_i32_e32 vcc, 16, v14
	v_cndmask_b32_e32 v5, 0, v5, vcc
	v_cndmask_b32_e32 v4, 7, v4, vcc
	v_cmp_ne_u32_e32 vcc, 0, v14
	v_cmp_ne_u64_e64 s[0:1], 0, v[4:5]
	s_or_b64 s[0:1], vcc, s[0:1]
                                        ; implicit-def: $vgpr10
	s_and_saveexec_b64 s[18:19], s[0:1]
	s_xor_b64 s[0:1], exec, s[18:19]
; %bb.50:
	v_min_i32_e32 v5, 15, v14
	v_lshl_or_b32 v5, v5, 3, v12
	v_and_or_b32 v10, v4, 7, v5
                                        ; implicit-def: $vgpr12
; %bb.51:
	s_andn2_saveexec_b64 s[0:1], s[0:1]
; %bb.52:
	v_mov_b32_e32 v10, v12
; %bb.53:
	s_or_b64 exec, exec, s[0:1]
.LBB4_54:
	s_or_b64 exec, exec, s[16:17]
.LBB4_55:
	s_andn2_saveexec_b64 s[0:1], s[14:15]
	s_or_b64 exec, exec, s[0:1]
                                        ; implicit-def: $vgpr14
                                        ; implicit-def: $vgpr4_vgpr5
.LBB4_56:
	s_andn2_saveexec_b64 s[0:1], s[8:9]
; %bb.57:
	s_movk_i32 s8, 0x7f
	v_or_b32_sdwa v12, v14, s8 dst_sel:DWORD dst_unused:UNUSED_PAD src0_sel:BYTE_3 src1_sel:DWORD
	v_cmp_eq_u64_e32 vcc, 0, v[4:5]
	v_cndmask_b32_e32 v10, v12, v10, vcc
; %bb.58:
	s_or_b64 exec, exec, s[0:1]
	v_mul_f32_e32 v4, v9, v31
	v_max_f32_e32 v4, 0xc3e00000, v4
	v_min_f32_e32 v16, 0x43e00000, v4
	v_mov_b32_e32 v5, 0
	s_movk_i32 s0, 0x80
	v_and_b32_sdwa v14, v16, s0 dst_sel:DWORD dst_unused:UNUSED_PAD src0_sel:BYTE_3 src1_sel:DWORD
	v_and_b32_e32 v32, 0x7f800000, v16
	v_mov_b32_e32 v33, v5
	s_mov_b64 s[0:1], 0x7f800000
	v_and_b32_e32 v4, 0x7fffff, v16
	v_or_b32_e32 v12, 0x7e, v14
	v_cmp_ne_u64_e32 vcc, s[0:1], v[32:33]
	s_and_saveexec_b64 s[0:1], vcc
	s_xor_b64 s[8:9], exec, s[0:1]
	s_cbranch_execz .LBB4_72
; %bb.59:
	v_and_b32_e32 v32, 0x7fffffff, v16
	v_mov_b32_e32 v33, v5
	s_mov_b64 s[0:1], 0x43e00001
	v_cmp_gt_u64_e32 vcc, s[0:1], v[32:33]
	s_and_saveexec_b64 s[0:1], vcc
	s_xor_b64 s[14:15], exec, s[0:1]
	s_cbranch_execz .LBB4_71
; %bb.60:
	v_cmp_ne_u32_e32 vcc, 0, v16
	v_mov_b32_e32 v12, 0
	s_and_saveexec_b64 s[16:17], vcc
	s_cbranch_execz .LBB4_70
; %bb.61:
	v_bfe_u32 v12, v16, 23, 8
	s_movk_i32 s0, 0x7a
	v_sub_u32_e32 v17, 0x79, v12
	v_cmp_gt_u32_e32 vcc, s0, v12
	v_add_u32_e32 v16, 0xffffff81, v12
	v_cndmask_b32_e32 v17, 0, v17, vcc
	v_mov_b32_e32 v32, 0xffffff82
	v_cmp_eq_u32_e32 vcc, 0, v12
	v_cndmask_b32_e32 v12, v16, v32, vcc
	v_mov_b32_e32 v16, 0x78
	v_cndmask_b32_e32 v36, v17, v16, vcc
	v_add_u32_e32 v16, 20, v36
	v_or_b32_e32 v31, 0x800000, v4
	v_lshlrev_b64 v[16:17], v16, -1
	v_cndmask_b32_e32 v4, v31, v4, vcc
	v_not_b32_e32 v16, v16
	v_and_b32_e32 v32, v4, v16
	v_add_u32_e32 v16, 19, v36
	v_lshrrev_b64 v[4:5], v36, v[4:5]
	v_not_b32_e32 v17, v17
	v_lshlrev_b64 v[34:35], v16, 1
	v_lshrrev_b32_e32 v16, 23, v4
	v_and_b32_e32 v33, 0, v17
	v_add3_u32 v17, v36, v12, v16
	v_bfe_u32 v16, v4, 20, 1
	v_add_u32_e32 v16, -1, v16
	v_cmp_eq_u64_e32 vcc, v[32:33], v[34:35]
	v_cndmask_b32_e32 v16, 0, v16, vcc
	v_add_u32_e32 v16, v16, v4
	v_and_b32_e32 v16, 0xfffff, v16
	v_add_co_u32_e32 v4, vcc, v16, v4
	v_add_u32_e32 v12, 6, v17
	v_addc_co_u32_e32 v5, vcc, 0, v5, vcc
	v_cmp_ne_u32_e32 vcc, 0, v12
                                        ; implicit-def: $vgpr16
	s_and_saveexec_b64 s[0:1], vcc
	s_xor_b64 s[0:1], exec, s[0:1]
; %bb.62:
	s_mov_b64 s[18:19], 0xffffff
	v_add_u32_e32 v16, 7, v17
	v_cmp_lt_u64_e32 vcc, s[18:19], v[4:5]
	v_cndmask_b32_e32 v16, v12, v16, vcc
	v_cndmask_b32_e64 v12, 0, 1, vcc
	v_lshrrev_b64 v[4:5], v12, v[4:5]
; %bb.63:
	s_andn2_saveexec_b64 s[0:1], s[0:1]
; %bb.64:
	v_bfe_u32 v16, v4, 23, 1
; %bb.65:
	s_or_b64 exec, exec, s[0:1]
	v_lshrrev_b64 v[4:5], 20, v[4:5]
	v_cmp_gt_i32_e32 vcc, 16, v16
	v_cndmask_b32_e32 v5, 0, v5, vcc
	v_cndmask_b32_e32 v4, 7, v4, vcc
	v_cmp_ne_u32_e32 vcc, 0, v16
	v_cmp_ne_u64_e64 s[0:1], 0, v[4:5]
	s_or_b64 s[0:1], vcc, s[0:1]
                                        ; implicit-def: $vgpr12
	s_and_saveexec_b64 s[18:19], s[0:1]
	s_xor_b64 s[0:1], exec, s[18:19]
; %bb.66:
	v_min_i32_e32 v5, 15, v16
	v_lshl_or_b32 v5, v5, 3, v14
	v_and_or_b32 v12, v4, 7, v5
                                        ; implicit-def: $vgpr14
; %bb.67:
	s_andn2_saveexec_b64 s[0:1], s[0:1]
; %bb.68:
	v_mov_b32_e32 v12, v14
; %bb.69:
	s_or_b64 exec, exec, s[0:1]
.LBB4_70:
	s_or_b64 exec, exec, s[16:17]
.LBB4_71:
	s_andn2_saveexec_b64 s[0:1], s[14:15]
	s_or_b64 exec, exec, s[0:1]
                                        ; implicit-def: $vgpr16
                                        ; implicit-def: $vgpr4_vgpr5
.LBB4_72:
	s_andn2_saveexec_b64 s[0:1], s[8:9]
; %bb.73:
	s_movk_i32 s8, 0x7f
	v_or_b32_sdwa v14, v16, s8 dst_sel:DWORD dst_unused:UNUSED_PAD src0_sel:BYTE_3 src1_sel:DWORD
	v_cmp_eq_u64_e32 vcc, 0, v[4:5]
	v_cndmask_b32_e32 v12, v14, v12, vcc
; %bb.74:
	s_or_b64 exec, exec, s[0:1]
	v_mul_f32_e32 v4, v9, v30
	v_max_f32_e32 v4, 0xc3e00000, v4
	v_min_f32_e32 v17, 0x43e00000, v4
	v_mov_b32_e32 v5, 0
	s_movk_i32 s0, 0x80
	v_and_b32_sdwa v16, v17, s0 dst_sel:DWORD dst_unused:UNUSED_PAD src0_sel:BYTE_3 src1_sel:DWORD
	v_and_b32_e32 v30, 0x7f800000, v17
	v_mov_b32_e32 v31, v5
	s_mov_b64 s[0:1], 0x7f800000
	v_and_b32_e32 v4, 0x7fffff, v17
	v_or_b32_e32 v14, 0x7e, v16
	v_cmp_ne_u64_e32 vcc, s[0:1], v[30:31]
	s_and_saveexec_b64 s[0:1], vcc
	s_xor_b64 s[8:9], exec, s[0:1]
	s_cbranch_execz .LBB4_88
; %bb.75:
	v_and_b32_e32 v30, 0x7fffffff, v17
	v_mov_b32_e32 v31, v5
	s_mov_b64 s[0:1], 0x43e00001
	v_cmp_gt_u64_e32 vcc, s[0:1], v[30:31]
	s_and_saveexec_b64 s[0:1], vcc
	s_xor_b64 s[14:15], exec, s[0:1]
	s_cbranch_execz .LBB4_87
; %bb.76:
	v_cmp_ne_u32_e32 vcc, 0, v17
	v_mov_b32_e32 v14, 0
	s_and_saveexec_b64 s[16:17], vcc
	s_cbranch_execz .LBB4_86
; %bb.77:
	v_bfe_u32 v14, v17, 23, 8
	s_movk_i32 s0, 0x7a
	v_sub_u32_e32 v30, 0x79, v14
	v_cmp_gt_u32_e32 vcc, s0, v14
	v_add_u32_e32 v17, 0xffffff81, v14
	v_cndmask_b32_e32 v30, 0, v30, vcc
	v_mov_b32_e32 v32, 0xffffff82
	v_cmp_eq_u32_e32 vcc, 0, v14
	v_cndmask_b32_e32 v14, v17, v32, vcc
	v_mov_b32_e32 v17, 0x78
	v_cndmask_b32_e32 v17, v30, v17, vcc
	v_or_b32_e32 v31, 0x800000, v4
	v_add_u32_e32 v30, 20, v17
	v_cndmask_b32_e32 v4, v31, v4, vcc
	v_lshlrev_b64 v[30:31], v30, -1
	v_not_b32_e32 v30, v30
	v_and_b32_e32 v32, v4, v30
	v_add_u32_e32 v30, 19, v17
	v_lshrrev_b64 v[4:5], v17, v[4:5]
	v_not_b32_e32 v31, v31
	v_lshlrev_b64 v[34:35], v30, 1
	v_lshrrev_b32_e32 v30, 23, v4
	v_and_b32_e32 v33, 0, v31
	v_add3_u32 v30, v17, v14, v30
	v_bfe_u32 v17, v4, 20, 1
	v_add_u32_e32 v17, -1, v17
	v_cmp_eq_u64_e32 vcc, v[32:33], v[34:35]
	v_cndmask_b32_e32 v17, 0, v17, vcc
	v_add_u32_e32 v17, v17, v4
	v_and_b32_e32 v17, 0xfffff, v17
	v_add_co_u32_e32 v4, vcc, v17, v4
	v_add_u32_e32 v14, 6, v30
	v_addc_co_u32_e32 v5, vcc, 0, v5, vcc
	v_cmp_ne_u32_e32 vcc, 0, v14
                                        ; implicit-def: $vgpr17
	s_and_saveexec_b64 s[0:1], vcc
	s_xor_b64 s[0:1], exec, s[0:1]
; %bb.78:
	s_mov_b64 s[18:19], 0xffffff
	v_add_u32_e32 v17, 7, v30
	v_cmp_lt_u64_e32 vcc, s[18:19], v[4:5]
	v_cndmask_b32_e32 v17, v14, v17, vcc
	v_cndmask_b32_e64 v14, 0, 1, vcc
	v_lshrrev_b64 v[4:5], v14, v[4:5]
; %bb.79:
	s_andn2_saveexec_b64 s[0:1], s[0:1]
; %bb.80:
	v_bfe_u32 v17, v4, 23, 1
; %bb.81:
	s_or_b64 exec, exec, s[0:1]
	v_lshrrev_b64 v[4:5], 20, v[4:5]
	v_cmp_gt_i32_e32 vcc, 16, v17
	v_cndmask_b32_e32 v5, 0, v5, vcc
	v_cndmask_b32_e32 v4, 7, v4, vcc
	v_cmp_ne_u32_e32 vcc, 0, v17
	v_cmp_ne_u64_e64 s[0:1], 0, v[4:5]
	s_or_b64 s[0:1], vcc, s[0:1]
                                        ; implicit-def: $vgpr14
	s_and_saveexec_b64 s[18:19], s[0:1]
	s_xor_b64 s[0:1], exec, s[18:19]
; %bb.82:
	v_min_i32_e32 v5, 15, v17
	v_lshl_or_b32 v5, v5, 3, v16
	v_and_or_b32 v14, v4, 7, v5
                                        ; implicit-def: $vgpr16
; %bb.83:
	s_andn2_saveexec_b64 s[0:1], s[0:1]
; %bb.84:
	v_mov_b32_e32 v14, v16
; %bb.85:
	s_or_b64 exec, exec, s[0:1]
.LBB4_86:
	s_or_b64 exec, exec, s[16:17]
.LBB4_87:
	s_andn2_saveexec_b64 s[0:1], s[14:15]
	s_or_b64 exec, exec, s[0:1]
                                        ; implicit-def: $vgpr17
                                        ; implicit-def: $vgpr4_vgpr5
.LBB4_88:
	s_andn2_saveexec_b64 s[0:1], s[8:9]
; %bb.89:
	s_movk_i32 s8, 0x7f
	v_or_b32_sdwa v16, v17, s8 dst_sel:DWORD dst_unused:UNUSED_PAD src0_sel:BYTE_3 src1_sel:DWORD
	v_cmp_eq_u64_e32 vcc, 0, v[4:5]
	v_cndmask_b32_e32 v14, v16, v14, vcc
; %bb.90:
	s_or_b64 exec, exec, s[0:1]
	v_mul_f32_e32 v4, v9, v29
	v_max_f32_e32 v4, 0xc3e00000, v4
	v_min_f32_e32 v29, 0x43e00000, v4
	v_mov_b32_e32 v5, 0
	s_movk_i32 s0, 0x80
	v_and_b32_sdwa v17, v29, s0 dst_sel:DWORD dst_unused:UNUSED_PAD src0_sel:BYTE_3 src1_sel:DWORD
	v_and_b32_e32 v30, 0x7f800000, v29
	v_mov_b32_e32 v31, v5
	s_mov_b64 s[0:1], 0x7f800000
	v_and_b32_e32 v4, 0x7fffff, v29
	v_or_b32_e32 v16, 0x7e, v17
	v_cmp_ne_u64_e32 vcc, s[0:1], v[30:31]
	s_and_saveexec_b64 s[0:1], vcc
	s_xor_b64 s[8:9], exec, s[0:1]
	s_cbranch_execz .LBB4_104
; %bb.91:
	v_and_b32_e32 v30, 0x7fffffff, v29
	v_mov_b32_e32 v31, v5
	s_mov_b64 s[0:1], 0x43e00001
	v_cmp_gt_u64_e32 vcc, s[0:1], v[30:31]
	s_and_saveexec_b64 s[0:1], vcc
	s_xor_b64 s[14:15], exec, s[0:1]
	s_cbranch_execz .LBB4_103
; %bb.92:
	v_cmp_ne_u32_e32 vcc, 0, v29
	v_mov_b32_e32 v16, 0
	s_and_saveexec_b64 s[16:17], vcc
	s_cbranch_execz .LBB4_102
; %bb.93:
	v_bfe_u32 v16, v29, 23, 8
	s_movk_i32 s0, 0x7a
	v_sub_u32_e32 v30, 0x79, v16
	v_cmp_gt_u32_e32 vcc, s0, v16
	v_add_u32_e32 v29, 0xffffff81, v16
	v_cndmask_b32_e32 v30, 0, v30, vcc
	v_mov_b32_e32 v32, 0xffffff82
	v_cmp_eq_u32_e32 vcc, 0, v16
	v_cndmask_b32_e32 v16, v29, v32, vcc
	v_mov_b32_e32 v29, 0x78
	v_cndmask_b32_e32 v29, v30, v29, vcc
	v_or_b32_e32 v31, 0x800000, v4
	v_add_u32_e32 v30, 20, v29
	v_cndmask_b32_e32 v4, v31, v4, vcc
	v_lshlrev_b64 v[30:31], v30, -1
	v_not_b32_e32 v30, v30
	v_and_b32_e32 v32, v4, v30
	v_add_u32_e32 v30, 19, v29
	v_lshrrev_b64 v[4:5], v29, v[4:5]
	v_not_b32_e32 v31, v31
	v_lshlrev_b64 v[34:35], v30, 1
	v_lshrrev_b32_e32 v30, 23, v4
	v_and_b32_e32 v33, 0, v31
	v_add3_u32 v30, v29, v16, v30
	v_bfe_u32 v29, v4, 20, 1
	v_add_u32_e32 v29, -1, v29
	v_cmp_eq_u64_e32 vcc, v[32:33], v[34:35]
	v_cndmask_b32_e32 v29, 0, v29, vcc
	v_add_u32_e32 v29, v29, v4
	v_and_b32_e32 v29, 0xfffff, v29
	v_add_co_u32_e32 v4, vcc, v29, v4
	v_add_u32_e32 v16, 6, v30
	v_addc_co_u32_e32 v5, vcc, 0, v5, vcc
	v_cmp_ne_u32_e32 vcc, 0, v16
                                        ; implicit-def: $vgpr29
	s_and_saveexec_b64 s[0:1], vcc
	s_xor_b64 s[0:1], exec, s[0:1]
; %bb.94:
	s_mov_b64 s[18:19], 0xffffff
	v_add_u32_e32 v29, 7, v30
	v_cmp_lt_u64_e32 vcc, s[18:19], v[4:5]
	v_cndmask_b32_e32 v29, v16, v29, vcc
	v_cndmask_b32_e64 v16, 0, 1, vcc
	v_lshrrev_b64 v[4:5], v16, v[4:5]
; %bb.95:
	s_andn2_saveexec_b64 s[0:1], s[0:1]
; %bb.96:
	v_bfe_u32 v29, v4, 23, 1
; %bb.97:
	s_or_b64 exec, exec, s[0:1]
	v_lshrrev_b64 v[4:5], 20, v[4:5]
	v_cmp_gt_i32_e32 vcc, 16, v29
	v_cndmask_b32_e32 v5, 0, v5, vcc
	v_cndmask_b32_e32 v4, 7, v4, vcc
	v_cmp_ne_u32_e32 vcc, 0, v29
	v_cmp_ne_u64_e64 s[0:1], 0, v[4:5]
	s_or_b64 s[0:1], vcc, s[0:1]
                                        ; implicit-def: $vgpr16
	s_and_saveexec_b64 s[18:19], s[0:1]
	s_xor_b64 s[0:1], exec, s[18:19]
; %bb.98:
	v_min_i32_e32 v5, 15, v29
	v_lshl_or_b32 v5, v5, 3, v17
	v_and_or_b32 v16, v4, 7, v5
                                        ; implicit-def: $vgpr17
; %bb.99:
	s_andn2_saveexec_b64 s[0:1], s[0:1]
; %bb.100:
	v_mov_b32_e32 v16, v17
; %bb.101:
	s_or_b64 exec, exec, s[0:1]
.LBB4_102:
	s_or_b64 exec, exec, s[16:17]
.LBB4_103:
	s_andn2_saveexec_b64 s[0:1], s[14:15]
	s_or_b64 exec, exec, s[0:1]
                                        ; implicit-def: $vgpr29
                                        ; implicit-def: $vgpr4_vgpr5
.LBB4_104:
	s_andn2_saveexec_b64 s[0:1], s[8:9]
; %bb.105:
	s_movk_i32 s8, 0x7f
	v_or_b32_sdwa v17, v29, s8 dst_sel:DWORD dst_unused:UNUSED_PAD src0_sel:BYTE_3 src1_sel:DWORD
	v_cmp_eq_u64_e32 vcc, 0, v[4:5]
	v_cndmask_b32_e32 v16, v17, v16, vcc
; %bb.106:
	s_or_b64 exec, exec, s[0:1]
	v_mul_f32_e32 v4, v9, v28
	v_max_f32_e32 v4, 0xc3e00000, v4
	v_min_f32_e32 v29, 0x43e00000, v4
	v_mov_b32_e32 v5, 0
	s_movk_i32 s0, 0x80
	v_and_b32_sdwa v28, v29, s0 dst_sel:DWORD dst_unused:UNUSED_PAD src0_sel:BYTE_3 src1_sel:DWORD
	v_and_b32_e32 v30, 0x7f800000, v29
	v_mov_b32_e32 v31, v5
	s_mov_b64 s[0:1], 0x7f800000
	v_and_b32_e32 v4, 0x7fffff, v29
	v_or_b32_e32 v17, 0x7e, v28
	v_cmp_ne_u64_e32 vcc, s[0:1], v[30:31]
	s_and_saveexec_b64 s[0:1], vcc
	s_xor_b64 s[8:9], exec, s[0:1]
	s_cbranch_execz .LBB4_120
; %bb.107:
	v_and_b32_e32 v30, 0x7fffffff, v29
	v_mov_b32_e32 v31, v5
	s_mov_b64 s[0:1], 0x43e00001
	v_cmp_gt_u64_e32 vcc, s[0:1], v[30:31]
	s_and_saveexec_b64 s[0:1], vcc
	s_xor_b64 s[14:15], exec, s[0:1]
	s_cbranch_execz .LBB4_119
; %bb.108:
	v_cmp_ne_u32_e32 vcc, 0, v29
	v_mov_b32_e32 v17, 0
	s_and_saveexec_b64 s[16:17], vcc
	s_cbranch_execz .LBB4_118
; %bb.109:
	v_bfe_u32 v17, v29, 23, 8
	s_movk_i32 s0, 0x7a
	v_sub_u32_e32 v30, 0x79, v17
	v_cmp_gt_u32_e32 vcc, s0, v17
	v_add_u32_e32 v29, 0xffffff81, v17
	v_cndmask_b32_e32 v30, 0, v30, vcc
	v_mov_b32_e32 v32, 0xffffff82
	v_cmp_eq_u32_e32 vcc, 0, v17
	v_cndmask_b32_e32 v17, v29, v32, vcc
	v_mov_b32_e32 v29, 0x78
	v_cndmask_b32_e32 v29, v30, v29, vcc
	v_or_b32_e32 v31, 0x800000, v4
	v_add_u32_e32 v30, 20, v29
	v_cndmask_b32_e32 v4, v31, v4, vcc
	v_lshlrev_b64 v[30:31], v30, -1
	v_not_b32_e32 v30, v30
	v_and_b32_e32 v32, v4, v30
	v_add_u32_e32 v30, 19, v29
	v_lshrrev_b64 v[4:5], v29, v[4:5]
	v_not_b32_e32 v31, v31
	v_lshlrev_b64 v[34:35], v30, 1
	v_lshrrev_b32_e32 v30, 23, v4
	v_and_b32_e32 v33, 0, v31
	v_add3_u32 v30, v29, v17, v30
	v_bfe_u32 v29, v4, 20, 1
	v_add_u32_e32 v29, -1, v29
	v_cmp_eq_u64_e32 vcc, v[32:33], v[34:35]
	v_cndmask_b32_e32 v29, 0, v29, vcc
	v_add_u32_e32 v29, v29, v4
	v_and_b32_e32 v29, 0xfffff, v29
	v_add_co_u32_e32 v4, vcc, v29, v4
	v_add_u32_e32 v17, 6, v30
	v_addc_co_u32_e32 v5, vcc, 0, v5, vcc
	v_cmp_ne_u32_e32 vcc, 0, v17
                                        ; implicit-def: $vgpr29
	s_and_saveexec_b64 s[0:1], vcc
	s_xor_b64 s[0:1], exec, s[0:1]
; %bb.110:
	s_mov_b64 s[18:19], 0xffffff
	v_add_u32_e32 v29, 7, v30
	v_cmp_lt_u64_e32 vcc, s[18:19], v[4:5]
	v_cndmask_b32_e32 v29, v17, v29, vcc
	v_cndmask_b32_e64 v17, 0, 1, vcc
	v_lshrrev_b64 v[4:5], v17, v[4:5]
; %bb.111:
	s_andn2_saveexec_b64 s[0:1], s[0:1]
; %bb.112:
	v_bfe_u32 v29, v4, 23, 1
; %bb.113:
	s_or_b64 exec, exec, s[0:1]
	v_lshrrev_b64 v[4:5], 20, v[4:5]
	v_cmp_gt_i32_e32 vcc, 16, v29
	v_cndmask_b32_e32 v5, 0, v5, vcc
	v_cndmask_b32_e32 v4, 7, v4, vcc
	v_cmp_ne_u32_e32 vcc, 0, v29
	v_cmp_ne_u64_e64 s[0:1], 0, v[4:5]
	s_or_b64 s[0:1], vcc, s[0:1]
                                        ; implicit-def: $vgpr17
	s_and_saveexec_b64 s[18:19], s[0:1]
	s_xor_b64 s[0:1], exec, s[18:19]
; %bb.114:
	v_min_i32_e32 v5, 15, v29
	v_lshl_or_b32 v5, v5, 3, v28
	v_and_or_b32 v17, v4, 7, v5
                                        ; implicit-def: $vgpr28
; %bb.115:
	s_andn2_saveexec_b64 s[0:1], s[0:1]
; %bb.116:
	v_mov_b32_e32 v17, v28
; %bb.117:
	s_or_b64 exec, exec, s[0:1]
.LBB4_118:
	s_or_b64 exec, exec, s[16:17]
.LBB4_119:
	s_andn2_saveexec_b64 s[0:1], s[14:15]
	s_or_b64 exec, exec, s[0:1]
                                        ; implicit-def: $vgpr29
                                        ; implicit-def: $vgpr4_vgpr5
.LBB4_120:
	s_andn2_saveexec_b64 s[0:1], s[8:9]
; %bb.121:
	s_movk_i32 s8, 0x7f
	v_or_b32_sdwa v28, v29, s8 dst_sel:DWORD dst_unused:UNUSED_PAD src0_sel:BYTE_3 src1_sel:DWORD
	v_cmp_eq_u64_e32 vcc, 0, v[4:5]
	v_cndmask_b32_e32 v17, v28, v17, vcc
; %bb.122:
	s_or_b64 exec, exec, s[0:1]
	v_mul_f32_e32 v4, v9, v24
	v_max_f32_e32 v4, 0xc3e00000, v4
	v_min_f32_e32 v29, 0x43e00000, v4
	v_mov_b32_e32 v5, 0
	s_movk_i32 s0, 0x80
	v_and_b32_sdwa v28, v29, s0 dst_sel:DWORD dst_unused:UNUSED_PAD src0_sel:BYTE_3 src1_sel:DWORD
	v_and_b32_e32 v30, 0x7f800000, v29
	v_mov_b32_e32 v31, v5
	s_mov_b64 s[0:1], 0x7f800000
	v_and_b32_e32 v4, 0x7fffff, v29
	v_or_b32_e32 v24, 0x7e, v28
	v_cmp_ne_u64_e32 vcc, s[0:1], v[30:31]
	s_and_saveexec_b64 s[0:1], vcc
	s_xor_b64 s[8:9], exec, s[0:1]
	s_cbranch_execz .LBB4_136
; %bb.123:
	v_and_b32_e32 v30, 0x7fffffff, v29
	v_mov_b32_e32 v31, v5
	s_mov_b64 s[0:1], 0x43e00001
	v_cmp_gt_u64_e32 vcc, s[0:1], v[30:31]
	s_and_saveexec_b64 s[0:1], vcc
	s_xor_b64 s[14:15], exec, s[0:1]
	s_cbranch_execz .LBB4_135
; %bb.124:
	v_cmp_ne_u32_e32 vcc, 0, v29
	v_mov_b32_e32 v24, 0
	s_and_saveexec_b64 s[16:17], vcc
	s_cbranch_execz .LBB4_134
; %bb.125:
	v_bfe_u32 v24, v29, 23, 8
	s_movk_i32 s0, 0x7a
	v_sub_u32_e32 v30, 0x79, v24
	v_cmp_gt_u32_e32 vcc, s0, v24
	v_add_u32_e32 v29, 0xffffff81, v24
	v_cndmask_b32_e32 v30, 0, v30, vcc
	v_mov_b32_e32 v32, 0xffffff82
	v_cmp_eq_u32_e32 vcc, 0, v24
	v_cndmask_b32_e32 v24, v29, v32, vcc
	v_mov_b32_e32 v29, 0x78
	v_cndmask_b32_e32 v29, v30, v29, vcc
	v_or_b32_e32 v31, 0x800000, v4
	v_add_u32_e32 v30, 20, v29
	v_cndmask_b32_e32 v4, v31, v4, vcc
	v_lshlrev_b64 v[30:31], v30, -1
	v_not_b32_e32 v30, v30
	v_and_b32_e32 v32, v4, v30
	v_add_u32_e32 v30, 19, v29
	v_lshrrev_b64 v[4:5], v29, v[4:5]
	v_not_b32_e32 v31, v31
	v_lshlrev_b64 v[34:35], v30, 1
	v_lshrrev_b32_e32 v30, 23, v4
	v_and_b32_e32 v33, 0, v31
	v_add3_u32 v30, v29, v24, v30
	v_bfe_u32 v29, v4, 20, 1
	v_add_u32_e32 v29, -1, v29
	v_cmp_eq_u64_e32 vcc, v[32:33], v[34:35]
	v_cndmask_b32_e32 v29, 0, v29, vcc
	v_add_u32_e32 v29, v29, v4
	v_and_b32_e32 v29, 0xfffff, v29
	v_add_co_u32_e32 v4, vcc, v29, v4
	v_add_u32_e32 v24, 6, v30
	v_addc_co_u32_e32 v5, vcc, 0, v5, vcc
	v_cmp_ne_u32_e32 vcc, 0, v24
                                        ; implicit-def: $vgpr29
	s_and_saveexec_b64 s[0:1], vcc
	s_xor_b64 s[0:1], exec, s[0:1]
; %bb.126:
	s_mov_b64 s[18:19], 0xffffff
	v_add_u32_e32 v29, 7, v30
	v_cmp_lt_u64_e32 vcc, s[18:19], v[4:5]
	v_cndmask_b32_e32 v29, v24, v29, vcc
	v_cndmask_b32_e64 v24, 0, 1, vcc
	v_lshrrev_b64 v[4:5], v24, v[4:5]
; %bb.127:
	s_andn2_saveexec_b64 s[0:1], s[0:1]
; %bb.128:
	v_bfe_u32 v29, v4, 23, 1
; %bb.129:
	s_or_b64 exec, exec, s[0:1]
	v_lshrrev_b64 v[4:5], 20, v[4:5]
	v_cmp_gt_i32_e32 vcc, 16, v29
	v_cndmask_b32_e32 v5, 0, v5, vcc
	v_cndmask_b32_e32 v4, 7, v4, vcc
	v_cmp_ne_u32_e32 vcc, 0, v29
	v_cmp_ne_u64_e64 s[0:1], 0, v[4:5]
	s_or_b64 s[0:1], vcc, s[0:1]
                                        ; implicit-def: $vgpr24
	s_and_saveexec_b64 s[18:19], s[0:1]
	s_xor_b64 s[0:1], exec, s[18:19]
; %bb.130:
	v_min_i32_e32 v5, 15, v29
	v_lshl_or_b32 v5, v5, 3, v28
	v_and_or_b32 v24, v4, 7, v5
                                        ; implicit-def: $vgpr28
; %bb.131:
	s_andn2_saveexec_b64 s[0:1], s[0:1]
; %bb.132:
	v_mov_b32_e32 v24, v28
; %bb.133:
	s_or_b64 exec, exec, s[0:1]
.LBB4_134:
	s_or_b64 exec, exec, s[16:17]
.LBB4_135:
	s_andn2_saveexec_b64 s[0:1], s[14:15]
	s_or_b64 exec, exec, s[0:1]
                                        ; implicit-def: $vgpr29
                                        ; implicit-def: $vgpr4_vgpr5
.LBB4_136:
	s_andn2_saveexec_b64 s[0:1], s[8:9]
; %bb.137:
	s_movk_i32 s8, 0x7f
	v_or_b32_sdwa v28, v29, s8 dst_sel:DWORD dst_unused:UNUSED_PAD src0_sel:BYTE_3 src1_sel:DWORD
	v_cmp_eq_u64_e32 vcc, 0, v[4:5]
	v_cndmask_b32_e32 v24, v28, v24, vcc
; %bb.138:
	s_or_b64 exec, exec, s[0:1]
	v_mul_f32_e32 v4, v9, v26
	v_max_f32_e32 v4, 0xc3e00000, v4
	v_min_f32_e32 v29, 0x43e00000, v4
	v_mov_b32_e32 v5, 0
	s_movk_i32 s0, 0x80
	v_and_b32_sdwa v28, v29, s0 dst_sel:DWORD dst_unused:UNUSED_PAD src0_sel:BYTE_3 src1_sel:DWORD
	v_and_b32_e32 v30, 0x7f800000, v29
	v_mov_b32_e32 v31, v5
	s_mov_b64 s[0:1], 0x7f800000
	v_and_b32_e32 v4, 0x7fffff, v29
	v_or_b32_e32 v26, 0x7e, v28
	v_cmp_ne_u64_e32 vcc, s[0:1], v[30:31]
	s_and_saveexec_b64 s[0:1], vcc
	s_xor_b64 s[8:9], exec, s[0:1]
	s_cbranch_execz .LBB4_152
; %bb.139:
	v_and_b32_e32 v30, 0x7fffffff, v29
	v_mov_b32_e32 v31, v5
	s_mov_b64 s[0:1], 0x43e00001
	v_cmp_gt_u64_e32 vcc, s[0:1], v[30:31]
	s_and_saveexec_b64 s[0:1], vcc
	s_xor_b64 s[14:15], exec, s[0:1]
	s_cbranch_execz .LBB4_151
; %bb.140:
	v_cmp_ne_u32_e32 vcc, 0, v29
	v_mov_b32_e32 v26, 0
	s_and_saveexec_b64 s[16:17], vcc
	s_cbranch_execz .LBB4_150
; %bb.141:
	v_bfe_u32 v26, v29, 23, 8
	s_movk_i32 s0, 0x7a
	v_sub_u32_e32 v30, 0x79, v26
	v_cmp_gt_u32_e32 vcc, s0, v26
	v_add_u32_e32 v29, 0xffffff81, v26
	v_cndmask_b32_e32 v30, 0, v30, vcc
	v_mov_b32_e32 v32, 0xffffff82
	v_cmp_eq_u32_e32 vcc, 0, v26
	v_cndmask_b32_e32 v26, v29, v32, vcc
	v_mov_b32_e32 v29, 0x78
	v_cndmask_b32_e32 v29, v30, v29, vcc
	v_or_b32_e32 v31, 0x800000, v4
	v_add_u32_e32 v30, 20, v29
	v_cndmask_b32_e32 v4, v31, v4, vcc
	v_lshlrev_b64 v[30:31], v30, -1
	v_not_b32_e32 v30, v30
	v_and_b32_e32 v32, v4, v30
	v_add_u32_e32 v30, 19, v29
	v_lshrrev_b64 v[4:5], v29, v[4:5]
	v_not_b32_e32 v31, v31
	v_lshlrev_b64 v[34:35], v30, 1
	v_lshrrev_b32_e32 v30, 23, v4
	v_and_b32_e32 v33, 0, v31
	v_add3_u32 v30, v29, v26, v30
	v_bfe_u32 v29, v4, 20, 1
	v_add_u32_e32 v29, -1, v29
	v_cmp_eq_u64_e32 vcc, v[32:33], v[34:35]
	v_cndmask_b32_e32 v29, 0, v29, vcc
	v_add_u32_e32 v29, v29, v4
	v_and_b32_e32 v29, 0xfffff, v29
	v_add_co_u32_e32 v4, vcc, v29, v4
	v_add_u32_e32 v26, 6, v30
	v_addc_co_u32_e32 v5, vcc, 0, v5, vcc
	v_cmp_ne_u32_e32 vcc, 0, v26
                                        ; implicit-def: $vgpr29
	s_and_saveexec_b64 s[0:1], vcc
	s_xor_b64 s[0:1], exec, s[0:1]
; %bb.142:
	s_mov_b64 s[18:19], 0xffffff
	v_add_u32_e32 v29, 7, v30
	v_cmp_lt_u64_e32 vcc, s[18:19], v[4:5]
	v_cndmask_b32_e32 v29, v26, v29, vcc
	v_cndmask_b32_e64 v26, 0, 1, vcc
	v_lshrrev_b64 v[4:5], v26, v[4:5]
; %bb.143:
	s_andn2_saveexec_b64 s[0:1], s[0:1]
; %bb.144:
	v_bfe_u32 v29, v4, 23, 1
; %bb.145:
	s_or_b64 exec, exec, s[0:1]
	v_lshrrev_b64 v[4:5], 20, v[4:5]
	v_cmp_gt_i32_e32 vcc, 16, v29
	v_cndmask_b32_e32 v5, 0, v5, vcc
	v_cndmask_b32_e32 v4, 7, v4, vcc
	v_cmp_ne_u32_e32 vcc, 0, v29
	v_cmp_ne_u64_e64 s[0:1], 0, v[4:5]
	s_or_b64 s[0:1], vcc, s[0:1]
                                        ; implicit-def: $vgpr26
	s_and_saveexec_b64 s[18:19], s[0:1]
	s_xor_b64 s[0:1], exec, s[18:19]
; %bb.146:
	v_min_i32_e32 v5, 15, v29
	v_lshl_or_b32 v5, v5, 3, v28
	v_and_or_b32 v26, v4, 7, v5
                                        ; implicit-def: $vgpr28
; %bb.147:
	s_andn2_saveexec_b64 s[0:1], s[0:1]
; %bb.148:
	v_mov_b32_e32 v26, v28
; %bb.149:
	s_or_b64 exec, exec, s[0:1]
.LBB4_150:
	s_or_b64 exec, exec, s[16:17]
.LBB4_151:
	s_andn2_saveexec_b64 s[0:1], s[14:15]
	s_or_b64 exec, exec, s[0:1]
                                        ; implicit-def: $vgpr29
                                        ; implicit-def: $vgpr4_vgpr5
.LBB4_152:
	s_andn2_saveexec_b64 s[0:1], s[8:9]
; %bb.153:
	s_movk_i32 s8, 0x7f
	v_or_b32_sdwa v28, v29, s8 dst_sel:DWORD dst_unused:UNUSED_PAD src0_sel:BYTE_3 src1_sel:DWORD
	v_cmp_eq_u64_e32 vcc, 0, v[4:5]
	v_cndmask_b32_e32 v26, v28, v26, vcc
; %bb.154:
	s_or_b64 exec, exec, s[0:1]
	v_mul_f32_e32 v4, v9, v27
	v_max_f32_e32 v4, 0xc3e00000, v4
	v_min_f32_e32 v29, 0x43e00000, v4
	v_mov_b32_e32 v5, 0
	s_movk_i32 s0, 0x80
	v_and_b32_sdwa v28, v29, s0 dst_sel:DWORD dst_unused:UNUSED_PAD src0_sel:BYTE_3 src1_sel:DWORD
	v_and_b32_e32 v30, 0x7f800000, v29
	v_mov_b32_e32 v31, v5
	s_mov_b64 s[0:1], 0x7f800000
	v_and_b32_e32 v4, 0x7fffff, v29
	v_or_b32_e32 v27, 0x7e, v28
	v_cmp_ne_u64_e32 vcc, s[0:1], v[30:31]
	s_and_saveexec_b64 s[0:1], vcc
	s_xor_b64 s[8:9], exec, s[0:1]
	s_cbranch_execz .LBB4_168
; %bb.155:
	v_and_b32_e32 v30, 0x7fffffff, v29
	v_mov_b32_e32 v31, v5
	s_mov_b64 s[0:1], 0x43e00001
	v_cmp_gt_u64_e32 vcc, s[0:1], v[30:31]
	s_and_saveexec_b64 s[0:1], vcc
	s_xor_b64 s[14:15], exec, s[0:1]
	s_cbranch_execz .LBB4_167
; %bb.156:
	v_cmp_ne_u32_e32 vcc, 0, v29
	v_mov_b32_e32 v27, 0
	s_and_saveexec_b64 s[16:17], vcc
	s_cbranch_execz .LBB4_166
; %bb.157:
	v_bfe_u32 v27, v29, 23, 8
	s_movk_i32 s0, 0x7a
	v_sub_u32_e32 v30, 0x79, v27
	v_cmp_gt_u32_e32 vcc, s0, v27
	v_add_u32_e32 v29, 0xffffff81, v27
	v_cndmask_b32_e32 v30, 0, v30, vcc
	v_mov_b32_e32 v32, 0xffffff82
	v_cmp_eq_u32_e32 vcc, 0, v27
	v_cndmask_b32_e32 v27, v29, v32, vcc
	v_mov_b32_e32 v29, 0x78
	v_cndmask_b32_e32 v29, v30, v29, vcc
	v_or_b32_e32 v31, 0x800000, v4
	v_add_u32_e32 v30, 20, v29
	v_cndmask_b32_e32 v4, v31, v4, vcc
	v_lshlrev_b64 v[30:31], v30, -1
	v_not_b32_e32 v30, v30
	v_and_b32_e32 v32, v4, v30
	v_add_u32_e32 v30, 19, v29
	v_lshrrev_b64 v[4:5], v29, v[4:5]
	v_not_b32_e32 v31, v31
	v_lshlrev_b64 v[34:35], v30, 1
	v_lshrrev_b32_e32 v30, 23, v4
	v_and_b32_e32 v33, 0, v31
	v_add3_u32 v30, v29, v27, v30
	v_bfe_u32 v29, v4, 20, 1
	v_add_u32_e32 v29, -1, v29
	v_cmp_eq_u64_e32 vcc, v[32:33], v[34:35]
	v_cndmask_b32_e32 v29, 0, v29, vcc
	v_add_u32_e32 v29, v29, v4
	v_and_b32_e32 v29, 0xfffff, v29
	v_add_co_u32_e32 v4, vcc, v29, v4
	v_add_u32_e32 v27, 6, v30
	v_addc_co_u32_e32 v5, vcc, 0, v5, vcc
	v_cmp_ne_u32_e32 vcc, 0, v27
                                        ; implicit-def: $vgpr29
	s_and_saveexec_b64 s[0:1], vcc
	s_xor_b64 s[0:1], exec, s[0:1]
; %bb.158:
	s_mov_b64 s[18:19], 0xffffff
	v_add_u32_e32 v29, 7, v30
	v_cmp_lt_u64_e32 vcc, s[18:19], v[4:5]
	v_cndmask_b32_e32 v29, v27, v29, vcc
	v_cndmask_b32_e64 v27, 0, 1, vcc
	v_lshrrev_b64 v[4:5], v27, v[4:5]
; %bb.159:
	s_andn2_saveexec_b64 s[0:1], s[0:1]
; %bb.160:
	v_bfe_u32 v29, v4, 23, 1
; %bb.161:
	s_or_b64 exec, exec, s[0:1]
	v_lshrrev_b64 v[4:5], 20, v[4:5]
	v_cmp_gt_i32_e32 vcc, 16, v29
	v_cndmask_b32_e32 v5, 0, v5, vcc
	v_cndmask_b32_e32 v4, 7, v4, vcc
	v_cmp_ne_u32_e32 vcc, 0, v29
	v_cmp_ne_u64_e64 s[0:1], 0, v[4:5]
	s_or_b64 s[0:1], vcc, s[0:1]
                                        ; implicit-def: $vgpr27
	s_and_saveexec_b64 s[18:19], s[0:1]
	s_xor_b64 s[0:1], exec, s[18:19]
; %bb.162:
	v_min_i32_e32 v5, 15, v29
	v_lshl_or_b32 v5, v5, 3, v28
	v_and_or_b32 v27, v4, 7, v5
                                        ; implicit-def: $vgpr28
; %bb.163:
	s_andn2_saveexec_b64 s[0:1], s[0:1]
; %bb.164:
	v_mov_b32_e32 v27, v28
; %bb.165:
	s_or_b64 exec, exec, s[0:1]
.LBB4_166:
	s_or_b64 exec, exec, s[16:17]
.LBB4_167:
	s_andn2_saveexec_b64 s[0:1], s[14:15]
	s_or_b64 exec, exec, s[0:1]
                                        ; implicit-def: $vgpr29
                                        ; implicit-def: $vgpr4_vgpr5
.LBB4_168:
	s_andn2_saveexec_b64 s[0:1], s[8:9]
; %bb.169:
	s_movk_i32 s8, 0x7f
	v_or_b32_sdwa v28, v29, s8 dst_sel:DWORD dst_unused:UNUSED_PAD src0_sel:BYTE_3 src1_sel:DWORD
	v_cmp_eq_u64_e32 vcc, 0, v[4:5]
	v_cndmask_b32_e32 v27, v28, v27, vcc
; %bb.170:
	s_or_b64 exec, exec, s[0:1]
	v_mul_f32_e32 v4, v9, v25
	v_max_f32_e32 v4, 0xc3e00000, v4
	v_min_f32_e32 v29, 0x43e00000, v4
	v_mov_b32_e32 v5, 0
	s_movk_i32 s0, 0x80
	v_and_b32_sdwa v28, v29, s0 dst_sel:DWORD dst_unused:UNUSED_PAD src0_sel:BYTE_3 src1_sel:DWORD
	v_and_b32_e32 v30, 0x7f800000, v29
	v_mov_b32_e32 v31, v5
	s_mov_b64 s[0:1], 0x7f800000
	v_and_b32_e32 v4, 0x7fffff, v29
	v_or_b32_e32 v25, 0x7e, v28
	v_cmp_ne_u64_e32 vcc, s[0:1], v[30:31]
	s_and_saveexec_b64 s[0:1], vcc
	s_xor_b64 s[8:9], exec, s[0:1]
	s_cbranch_execz .LBB4_184
; %bb.171:
	v_and_b32_e32 v30, 0x7fffffff, v29
	v_mov_b32_e32 v31, v5
	s_mov_b64 s[0:1], 0x43e00001
	v_cmp_gt_u64_e32 vcc, s[0:1], v[30:31]
	s_and_saveexec_b64 s[0:1], vcc
	s_xor_b64 s[14:15], exec, s[0:1]
	s_cbranch_execz .LBB4_183
; %bb.172:
	v_cmp_ne_u32_e32 vcc, 0, v29
	v_mov_b32_e32 v25, 0
	s_and_saveexec_b64 s[16:17], vcc
	s_cbranch_execz .LBB4_182
; %bb.173:
	v_bfe_u32 v25, v29, 23, 8
	s_movk_i32 s0, 0x7a
	v_sub_u32_e32 v30, 0x79, v25
	v_cmp_gt_u32_e32 vcc, s0, v25
	v_add_u32_e32 v29, 0xffffff81, v25
	v_cndmask_b32_e32 v30, 0, v30, vcc
	v_mov_b32_e32 v32, 0xffffff82
	v_cmp_eq_u32_e32 vcc, 0, v25
	v_cndmask_b32_e32 v25, v29, v32, vcc
	v_mov_b32_e32 v29, 0x78
	v_cndmask_b32_e32 v29, v30, v29, vcc
	v_or_b32_e32 v31, 0x800000, v4
	v_add_u32_e32 v30, 20, v29
	v_cndmask_b32_e32 v4, v31, v4, vcc
	v_lshlrev_b64 v[30:31], v30, -1
	v_not_b32_e32 v30, v30
	v_and_b32_e32 v32, v4, v30
	v_add_u32_e32 v30, 19, v29
	v_lshrrev_b64 v[4:5], v29, v[4:5]
	v_not_b32_e32 v31, v31
	v_lshlrev_b64 v[34:35], v30, 1
	v_lshrrev_b32_e32 v30, 23, v4
	v_and_b32_e32 v33, 0, v31
	v_add3_u32 v30, v29, v25, v30
	v_bfe_u32 v29, v4, 20, 1
	v_add_u32_e32 v29, -1, v29
	v_cmp_eq_u64_e32 vcc, v[32:33], v[34:35]
	v_cndmask_b32_e32 v29, 0, v29, vcc
	v_add_u32_e32 v29, v29, v4
	v_and_b32_e32 v29, 0xfffff, v29
	v_add_co_u32_e32 v4, vcc, v29, v4
	v_add_u32_e32 v25, 6, v30
	v_addc_co_u32_e32 v5, vcc, 0, v5, vcc
	v_cmp_ne_u32_e32 vcc, 0, v25
                                        ; implicit-def: $vgpr29
	s_and_saveexec_b64 s[0:1], vcc
	s_xor_b64 s[0:1], exec, s[0:1]
; %bb.174:
	s_mov_b64 s[18:19], 0xffffff
	v_add_u32_e32 v29, 7, v30
	v_cmp_lt_u64_e32 vcc, s[18:19], v[4:5]
	v_cndmask_b32_e32 v29, v25, v29, vcc
	v_cndmask_b32_e64 v25, 0, 1, vcc
	v_lshrrev_b64 v[4:5], v25, v[4:5]
; %bb.175:
	s_andn2_saveexec_b64 s[0:1], s[0:1]
; %bb.176:
	v_bfe_u32 v29, v4, 23, 1
; %bb.177:
	s_or_b64 exec, exec, s[0:1]
	v_lshrrev_b64 v[4:5], 20, v[4:5]
	v_cmp_gt_i32_e32 vcc, 16, v29
	v_cndmask_b32_e32 v5, 0, v5, vcc
	v_cndmask_b32_e32 v4, 7, v4, vcc
	v_cmp_ne_u32_e32 vcc, 0, v29
	v_cmp_ne_u64_e64 s[0:1], 0, v[4:5]
	s_or_b64 s[0:1], vcc, s[0:1]
                                        ; implicit-def: $vgpr25
	s_and_saveexec_b64 s[18:19], s[0:1]
	s_xor_b64 s[0:1], exec, s[18:19]
; %bb.178:
	v_min_i32_e32 v5, 15, v29
	v_lshl_or_b32 v5, v5, 3, v28
	v_and_or_b32 v25, v4, 7, v5
                                        ; implicit-def: $vgpr28
; %bb.179:
	s_andn2_saveexec_b64 s[0:1], s[0:1]
; %bb.180:
	v_mov_b32_e32 v25, v28
; %bb.181:
	s_or_b64 exec, exec, s[0:1]
.LBB4_182:
	s_or_b64 exec, exec, s[16:17]
.LBB4_183:
	s_andn2_saveexec_b64 s[0:1], s[14:15]
	s_or_b64 exec, exec, s[0:1]
                                        ; implicit-def: $vgpr29
                                        ; implicit-def: $vgpr4_vgpr5
.LBB4_184:
	s_andn2_saveexec_b64 s[0:1], s[8:9]
; %bb.185:
	s_movk_i32 s8, 0x7f
	v_or_b32_sdwa v28, v29, s8 dst_sel:DWORD dst_unused:UNUSED_PAD src0_sel:BYTE_3 src1_sel:DWORD
	v_cmp_eq_u64_e32 vcc, 0, v[4:5]
	v_cndmask_b32_e32 v25, v28, v25, vcc
; %bb.186:
	s_or_b64 exec, exec, s[0:1]
	v_mul_f32_e32 v4, v9, v23
	v_max_f32_e32 v4, 0xc3e00000, v4
	v_min_f32_e32 v29, 0x43e00000, v4
	v_mov_b32_e32 v5, 0
	s_movk_i32 s0, 0x80
	v_and_b32_sdwa v28, v29, s0 dst_sel:DWORD dst_unused:UNUSED_PAD src0_sel:BYTE_3 src1_sel:DWORD
	v_and_b32_e32 v30, 0x7f800000, v29
	v_mov_b32_e32 v31, v5
	s_mov_b64 s[0:1], 0x7f800000
	v_and_b32_e32 v4, 0x7fffff, v29
	v_or_b32_e32 v23, 0x7e, v28
	v_cmp_ne_u64_e32 vcc, s[0:1], v[30:31]
	s_and_saveexec_b64 s[0:1], vcc
	s_xor_b64 s[8:9], exec, s[0:1]
	s_cbranch_execz .LBB4_200
; %bb.187:
	v_and_b32_e32 v30, 0x7fffffff, v29
	v_mov_b32_e32 v31, v5
	s_mov_b64 s[0:1], 0x43e00001
	v_cmp_gt_u64_e32 vcc, s[0:1], v[30:31]
	s_and_saveexec_b64 s[0:1], vcc
	s_xor_b64 s[14:15], exec, s[0:1]
	s_cbranch_execz .LBB4_199
; %bb.188:
	v_cmp_ne_u32_e32 vcc, 0, v29
	v_mov_b32_e32 v23, 0
	s_and_saveexec_b64 s[16:17], vcc
	s_cbranch_execz .LBB4_198
; %bb.189:
	v_bfe_u32 v23, v29, 23, 8
	s_movk_i32 s0, 0x7a
	v_sub_u32_e32 v30, 0x79, v23
	v_cmp_gt_u32_e32 vcc, s0, v23
	v_add_u32_e32 v29, 0xffffff81, v23
	v_cndmask_b32_e32 v30, 0, v30, vcc
	v_mov_b32_e32 v32, 0xffffff82
	v_cmp_eq_u32_e32 vcc, 0, v23
	v_cndmask_b32_e32 v23, v29, v32, vcc
	v_mov_b32_e32 v29, 0x78
	v_cndmask_b32_e32 v29, v30, v29, vcc
	v_or_b32_e32 v31, 0x800000, v4
	v_add_u32_e32 v30, 20, v29
	v_cndmask_b32_e32 v4, v31, v4, vcc
	v_lshlrev_b64 v[30:31], v30, -1
	v_not_b32_e32 v30, v30
	v_and_b32_e32 v32, v4, v30
	v_add_u32_e32 v30, 19, v29
	v_lshrrev_b64 v[4:5], v29, v[4:5]
	v_not_b32_e32 v31, v31
	v_lshlrev_b64 v[34:35], v30, 1
	v_lshrrev_b32_e32 v30, 23, v4
	v_and_b32_e32 v33, 0, v31
	v_add3_u32 v30, v29, v23, v30
	v_bfe_u32 v29, v4, 20, 1
	v_add_u32_e32 v29, -1, v29
	v_cmp_eq_u64_e32 vcc, v[32:33], v[34:35]
	v_cndmask_b32_e32 v29, 0, v29, vcc
	v_add_u32_e32 v29, v29, v4
	v_and_b32_e32 v29, 0xfffff, v29
	v_add_co_u32_e32 v4, vcc, v29, v4
	v_add_u32_e32 v23, 6, v30
	v_addc_co_u32_e32 v5, vcc, 0, v5, vcc
	v_cmp_ne_u32_e32 vcc, 0, v23
                                        ; implicit-def: $vgpr29
	s_and_saveexec_b64 s[0:1], vcc
	s_xor_b64 s[0:1], exec, s[0:1]
; %bb.190:
	s_mov_b64 s[18:19], 0xffffff
	v_add_u32_e32 v29, 7, v30
	v_cmp_lt_u64_e32 vcc, s[18:19], v[4:5]
	v_cndmask_b32_e32 v29, v23, v29, vcc
	v_cndmask_b32_e64 v23, 0, 1, vcc
	v_lshrrev_b64 v[4:5], v23, v[4:5]
; %bb.191:
	s_andn2_saveexec_b64 s[0:1], s[0:1]
; %bb.192:
	v_bfe_u32 v29, v4, 23, 1
; %bb.193:
	s_or_b64 exec, exec, s[0:1]
	v_lshrrev_b64 v[4:5], 20, v[4:5]
	v_cmp_gt_i32_e32 vcc, 16, v29
	v_cndmask_b32_e32 v5, 0, v5, vcc
	v_cndmask_b32_e32 v4, 7, v4, vcc
	v_cmp_ne_u32_e32 vcc, 0, v29
	v_cmp_ne_u64_e64 s[0:1], 0, v[4:5]
	s_or_b64 s[0:1], vcc, s[0:1]
                                        ; implicit-def: $vgpr23
	s_and_saveexec_b64 s[18:19], s[0:1]
	s_xor_b64 s[0:1], exec, s[18:19]
; %bb.194:
	v_min_i32_e32 v5, 15, v29
	v_lshl_or_b32 v5, v5, 3, v28
	v_and_or_b32 v23, v4, 7, v5
                                        ; implicit-def: $vgpr28
; %bb.195:
	s_andn2_saveexec_b64 s[0:1], s[0:1]
; %bb.196:
	v_mov_b32_e32 v23, v28
; %bb.197:
	s_or_b64 exec, exec, s[0:1]
.LBB4_198:
	s_or_b64 exec, exec, s[16:17]
.LBB4_199:
	s_andn2_saveexec_b64 s[0:1], s[14:15]
	s_or_b64 exec, exec, s[0:1]
                                        ; implicit-def: $vgpr29
                                        ; implicit-def: $vgpr4_vgpr5
.LBB4_200:
	s_andn2_saveexec_b64 s[0:1], s[8:9]
; %bb.201:
	s_movk_i32 s8, 0x7f
	v_or_b32_sdwa v28, v29, s8 dst_sel:DWORD dst_unused:UNUSED_PAD src0_sel:BYTE_3 src1_sel:DWORD
	v_cmp_eq_u64_e32 vcc, 0, v[4:5]
	v_cndmask_b32_e32 v23, v28, v23, vcc
; %bb.202:
	s_or_b64 exec, exec, s[0:1]
	v_mul_f32_e32 v4, v9, v22
	v_max_f32_e32 v4, 0xc3e00000, v4
	v_min_f32_e32 v29, 0x43e00000, v4
	v_mov_b32_e32 v5, 0
	s_movk_i32 s0, 0x80
	v_and_b32_sdwa v28, v29, s0 dst_sel:DWORD dst_unused:UNUSED_PAD src0_sel:BYTE_3 src1_sel:DWORD
	v_and_b32_e32 v30, 0x7f800000, v29
	v_mov_b32_e32 v31, v5
	s_mov_b64 s[0:1], 0x7f800000
	v_and_b32_e32 v4, 0x7fffff, v29
	v_or_b32_e32 v22, 0x7e, v28
	v_cmp_ne_u64_e32 vcc, s[0:1], v[30:31]
	s_and_saveexec_b64 s[0:1], vcc
	s_xor_b64 s[8:9], exec, s[0:1]
	s_cbranch_execz .LBB4_216
; %bb.203:
	v_and_b32_e32 v30, 0x7fffffff, v29
	v_mov_b32_e32 v31, v5
	s_mov_b64 s[0:1], 0x43e00001
	v_cmp_gt_u64_e32 vcc, s[0:1], v[30:31]
	s_and_saveexec_b64 s[0:1], vcc
	s_xor_b64 s[14:15], exec, s[0:1]
	s_cbranch_execz .LBB4_215
; %bb.204:
	v_cmp_ne_u32_e32 vcc, 0, v29
	v_mov_b32_e32 v22, 0
	s_and_saveexec_b64 s[16:17], vcc
	s_cbranch_execz .LBB4_214
; %bb.205:
	v_bfe_u32 v22, v29, 23, 8
	s_movk_i32 s0, 0x7a
	v_sub_u32_e32 v30, 0x79, v22
	v_cmp_gt_u32_e32 vcc, s0, v22
	v_add_u32_e32 v29, 0xffffff81, v22
	v_cndmask_b32_e32 v30, 0, v30, vcc
	v_mov_b32_e32 v32, 0xffffff82
	v_cmp_eq_u32_e32 vcc, 0, v22
	v_cndmask_b32_e32 v22, v29, v32, vcc
	v_mov_b32_e32 v29, 0x78
	v_cndmask_b32_e32 v29, v30, v29, vcc
	v_or_b32_e32 v31, 0x800000, v4
	v_add_u32_e32 v30, 20, v29
	v_cndmask_b32_e32 v4, v31, v4, vcc
	v_lshlrev_b64 v[30:31], v30, -1
	v_not_b32_e32 v30, v30
	v_and_b32_e32 v32, v4, v30
	v_add_u32_e32 v30, 19, v29
	v_lshrrev_b64 v[4:5], v29, v[4:5]
	v_not_b32_e32 v31, v31
	v_lshlrev_b64 v[34:35], v30, 1
	v_lshrrev_b32_e32 v30, 23, v4
	v_and_b32_e32 v33, 0, v31
	v_add3_u32 v30, v29, v22, v30
	v_bfe_u32 v29, v4, 20, 1
	v_add_u32_e32 v29, -1, v29
	v_cmp_eq_u64_e32 vcc, v[32:33], v[34:35]
	v_cndmask_b32_e32 v29, 0, v29, vcc
	v_add_u32_e32 v29, v29, v4
	v_and_b32_e32 v29, 0xfffff, v29
	v_add_co_u32_e32 v4, vcc, v29, v4
	v_add_u32_e32 v22, 6, v30
	v_addc_co_u32_e32 v5, vcc, 0, v5, vcc
	v_cmp_ne_u32_e32 vcc, 0, v22
                                        ; implicit-def: $vgpr29
	s_and_saveexec_b64 s[0:1], vcc
	s_xor_b64 s[0:1], exec, s[0:1]
; %bb.206:
	s_mov_b64 s[18:19], 0xffffff
	v_add_u32_e32 v29, 7, v30
	v_cmp_lt_u64_e32 vcc, s[18:19], v[4:5]
	v_cndmask_b32_e32 v29, v22, v29, vcc
	v_cndmask_b32_e64 v22, 0, 1, vcc
	v_lshrrev_b64 v[4:5], v22, v[4:5]
; %bb.207:
	s_andn2_saveexec_b64 s[0:1], s[0:1]
; %bb.208:
	v_bfe_u32 v29, v4, 23, 1
; %bb.209:
	s_or_b64 exec, exec, s[0:1]
	v_lshrrev_b64 v[4:5], 20, v[4:5]
	v_cmp_gt_i32_e32 vcc, 16, v29
	v_cndmask_b32_e32 v5, 0, v5, vcc
	v_cndmask_b32_e32 v4, 7, v4, vcc
	v_cmp_ne_u32_e32 vcc, 0, v29
	v_cmp_ne_u64_e64 s[0:1], 0, v[4:5]
	s_or_b64 s[0:1], vcc, s[0:1]
                                        ; implicit-def: $vgpr22
	s_and_saveexec_b64 s[18:19], s[0:1]
	s_xor_b64 s[0:1], exec, s[18:19]
; %bb.210:
	v_min_i32_e32 v5, 15, v29
	v_lshl_or_b32 v5, v5, 3, v28
	v_and_or_b32 v22, v4, 7, v5
                                        ; implicit-def: $vgpr28
; %bb.211:
	s_andn2_saveexec_b64 s[0:1], s[0:1]
; %bb.212:
	v_mov_b32_e32 v22, v28
; %bb.213:
	s_or_b64 exec, exec, s[0:1]
.LBB4_214:
	s_or_b64 exec, exec, s[16:17]
.LBB4_215:
	s_andn2_saveexec_b64 s[0:1], s[14:15]
	s_or_b64 exec, exec, s[0:1]
                                        ; implicit-def: $vgpr29
                                        ; implicit-def: $vgpr4_vgpr5
.LBB4_216:
	s_andn2_saveexec_b64 s[0:1], s[8:9]
; %bb.217:
	s_movk_i32 s8, 0x7f
	v_or_b32_sdwa v28, v29, s8 dst_sel:DWORD dst_unused:UNUSED_PAD src0_sel:BYTE_3 src1_sel:DWORD
	v_cmp_eq_u64_e32 vcc, 0, v[4:5]
	v_cndmask_b32_e32 v22, v28, v22, vcc
; %bb.218:
	s_or_b64 exec, exec, s[0:1]
	v_mul_f32_e32 v4, v9, v15
	v_max_f32_e32 v4, 0xc3e00000, v4
	v_min_f32_e32 v29, 0x43e00000, v4
	v_mov_b32_e32 v5, 0
	s_movk_i32 s0, 0x80
	v_and_b32_sdwa v28, v29, s0 dst_sel:DWORD dst_unused:UNUSED_PAD src0_sel:BYTE_3 src1_sel:DWORD
	v_and_b32_e32 v30, 0x7f800000, v29
	v_mov_b32_e32 v31, v5
	s_mov_b64 s[0:1], 0x7f800000
	v_and_b32_e32 v4, 0x7fffff, v29
	v_or_b32_e32 v15, 0x7e, v28
	v_cmp_ne_u64_e32 vcc, s[0:1], v[30:31]
	s_and_saveexec_b64 s[0:1], vcc
	s_xor_b64 s[8:9], exec, s[0:1]
	s_cbranch_execz .LBB4_232
; %bb.219:
	v_and_b32_e32 v30, 0x7fffffff, v29
	v_mov_b32_e32 v31, v5
	s_mov_b64 s[0:1], 0x43e00001
	v_cmp_gt_u64_e32 vcc, s[0:1], v[30:31]
	s_and_saveexec_b64 s[0:1], vcc
	s_xor_b64 s[14:15], exec, s[0:1]
	s_cbranch_execz .LBB4_231
; %bb.220:
	v_cmp_ne_u32_e32 vcc, 0, v29
	v_mov_b32_e32 v15, 0
	s_and_saveexec_b64 s[16:17], vcc
	s_cbranch_execz .LBB4_230
; %bb.221:
	v_bfe_u32 v15, v29, 23, 8
	s_movk_i32 s0, 0x7a
	v_sub_u32_e32 v30, 0x79, v15
	v_cmp_gt_u32_e32 vcc, s0, v15
	v_add_u32_e32 v29, 0xffffff81, v15
	v_cndmask_b32_e32 v30, 0, v30, vcc
	v_mov_b32_e32 v32, 0xffffff82
	v_cmp_eq_u32_e32 vcc, 0, v15
	v_cndmask_b32_e32 v15, v29, v32, vcc
	v_mov_b32_e32 v29, 0x78
	v_cndmask_b32_e32 v29, v30, v29, vcc
	v_or_b32_e32 v31, 0x800000, v4
	v_add_u32_e32 v30, 20, v29
	v_cndmask_b32_e32 v4, v31, v4, vcc
	v_lshlrev_b64 v[30:31], v30, -1
	v_not_b32_e32 v30, v30
	v_and_b32_e32 v32, v4, v30
	v_add_u32_e32 v30, 19, v29
	v_lshrrev_b64 v[4:5], v29, v[4:5]
	v_not_b32_e32 v31, v31
	v_lshlrev_b64 v[34:35], v30, 1
	v_lshrrev_b32_e32 v30, 23, v4
	v_and_b32_e32 v33, 0, v31
	v_add3_u32 v30, v29, v15, v30
	v_bfe_u32 v29, v4, 20, 1
	v_add_u32_e32 v29, -1, v29
	v_cmp_eq_u64_e32 vcc, v[32:33], v[34:35]
	v_cndmask_b32_e32 v29, 0, v29, vcc
	v_add_u32_e32 v29, v29, v4
	v_and_b32_e32 v29, 0xfffff, v29
	v_add_co_u32_e32 v4, vcc, v29, v4
	v_add_u32_e32 v15, 6, v30
	v_addc_co_u32_e32 v5, vcc, 0, v5, vcc
	v_cmp_ne_u32_e32 vcc, 0, v15
                                        ; implicit-def: $vgpr29
	s_and_saveexec_b64 s[0:1], vcc
	s_xor_b64 s[0:1], exec, s[0:1]
; %bb.222:
	s_mov_b64 s[18:19], 0xffffff
	v_add_u32_e32 v29, 7, v30
	v_cmp_lt_u64_e32 vcc, s[18:19], v[4:5]
	v_cndmask_b32_e32 v29, v15, v29, vcc
	v_cndmask_b32_e64 v15, 0, 1, vcc
	v_lshrrev_b64 v[4:5], v15, v[4:5]
; %bb.223:
	s_andn2_saveexec_b64 s[0:1], s[0:1]
; %bb.224:
	v_bfe_u32 v29, v4, 23, 1
; %bb.225:
	s_or_b64 exec, exec, s[0:1]
	v_lshrrev_b64 v[4:5], 20, v[4:5]
	v_cmp_gt_i32_e32 vcc, 16, v29
	v_cndmask_b32_e32 v5, 0, v5, vcc
	v_cndmask_b32_e32 v4, 7, v4, vcc
	v_cmp_ne_u32_e32 vcc, 0, v29
	v_cmp_ne_u64_e64 s[0:1], 0, v[4:5]
	s_or_b64 s[0:1], vcc, s[0:1]
                                        ; implicit-def: $vgpr15
	s_and_saveexec_b64 s[18:19], s[0:1]
	s_xor_b64 s[0:1], exec, s[18:19]
; %bb.226:
	v_min_i32_e32 v5, 15, v29
	v_lshl_or_b32 v5, v5, 3, v28
	v_and_or_b32 v15, v4, 7, v5
                                        ; implicit-def: $vgpr28
; %bb.227:
	s_andn2_saveexec_b64 s[0:1], s[0:1]
; %bb.228:
	v_mov_b32_e32 v15, v28
; %bb.229:
	s_or_b64 exec, exec, s[0:1]
.LBB4_230:
	s_or_b64 exec, exec, s[16:17]
.LBB4_231:
	s_andn2_saveexec_b64 s[0:1], s[14:15]
	s_or_b64 exec, exec, s[0:1]
                                        ; implicit-def: $vgpr29
                                        ; implicit-def: $vgpr4_vgpr5
.LBB4_232:
	s_andn2_saveexec_b64 s[0:1], s[8:9]
; %bb.233:
	s_movk_i32 s8, 0x7f
	v_or_b32_sdwa v28, v29, s8 dst_sel:DWORD dst_unused:UNUSED_PAD src0_sel:BYTE_3 src1_sel:DWORD
	v_cmp_eq_u64_e32 vcc, 0, v[4:5]
	v_cndmask_b32_e32 v15, v28, v15, vcc
; %bb.234:
	s_or_b64 exec, exec, s[0:1]
	v_mul_f32_e32 v4, v9, v13
	v_max_f32_e32 v4, 0xc3e00000, v4
	v_min_f32_e32 v29, 0x43e00000, v4
	v_mov_b32_e32 v5, 0
	s_movk_i32 s0, 0x80
	v_and_b32_sdwa v28, v29, s0 dst_sel:DWORD dst_unused:UNUSED_PAD src0_sel:BYTE_3 src1_sel:DWORD
	v_and_b32_e32 v30, 0x7f800000, v29
	v_mov_b32_e32 v31, v5
	s_mov_b64 s[0:1], 0x7f800000
	v_and_b32_e32 v4, 0x7fffff, v29
	v_or_b32_e32 v13, 0x7e, v28
	v_cmp_ne_u64_e32 vcc, s[0:1], v[30:31]
	s_and_saveexec_b64 s[0:1], vcc
	s_xor_b64 s[8:9], exec, s[0:1]
	s_cbranch_execz .LBB4_248
; %bb.235:
	v_and_b32_e32 v30, 0x7fffffff, v29
	v_mov_b32_e32 v31, v5
	s_mov_b64 s[0:1], 0x43e00001
	v_cmp_gt_u64_e32 vcc, s[0:1], v[30:31]
	s_and_saveexec_b64 s[0:1], vcc
	s_xor_b64 s[14:15], exec, s[0:1]
	s_cbranch_execz .LBB4_247
; %bb.236:
	v_cmp_ne_u32_e32 vcc, 0, v29
	v_mov_b32_e32 v13, 0
	s_and_saveexec_b64 s[16:17], vcc
	s_cbranch_execz .LBB4_246
; %bb.237:
	v_bfe_u32 v13, v29, 23, 8
	s_movk_i32 s0, 0x7a
	v_sub_u32_e32 v30, 0x79, v13
	v_cmp_gt_u32_e32 vcc, s0, v13
	v_add_u32_e32 v29, 0xffffff81, v13
	v_cndmask_b32_e32 v30, 0, v30, vcc
	v_mov_b32_e32 v32, 0xffffff82
	v_cmp_eq_u32_e32 vcc, 0, v13
	v_cndmask_b32_e32 v13, v29, v32, vcc
	v_mov_b32_e32 v29, 0x78
	v_cndmask_b32_e32 v29, v30, v29, vcc
	v_or_b32_e32 v31, 0x800000, v4
	v_add_u32_e32 v30, 20, v29
	v_cndmask_b32_e32 v4, v31, v4, vcc
	v_lshlrev_b64 v[30:31], v30, -1
	v_not_b32_e32 v30, v30
	v_and_b32_e32 v32, v4, v30
	v_add_u32_e32 v30, 19, v29
	v_lshrrev_b64 v[4:5], v29, v[4:5]
	v_not_b32_e32 v31, v31
	v_lshlrev_b64 v[34:35], v30, 1
	v_lshrrev_b32_e32 v30, 23, v4
	v_and_b32_e32 v33, 0, v31
	v_add3_u32 v30, v29, v13, v30
	v_bfe_u32 v29, v4, 20, 1
	v_add_u32_e32 v29, -1, v29
	v_cmp_eq_u64_e32 vcc, v[32:33], v[34:35]
	v_cndmask_b32_e32 v29, 0, v29, vcc
	v_add_u32_e32 v29, v29, v4
	v_and_b32_e32 v29, 0xfffff, v29
	v_add_co_u32_e32 v4, vcc, v29, v4
	v_add_u32_e32 v13, 6, v30
	v_addc_co_u32_e32 v5, vcc, 0, v5, vcc
	v_cmp_ne_u32_e32 vcc, 0, v13
                                        ; implicit-def: $vgpr29
	s_and_saveexec_b64 s[0:1], vcc
	s_xor_b64 s[0:1], exec, s[0:1]
; %bb.238:
	s_mov_b64 s[18:19], 0xffffff
	v_add_u32_e32 v29, 7, v30
	v_cmp_lt_u64_e32 vcc, s[18:19], v[4:5]
	v_cndmask_b32_e32 v29, v13, v29, vcc
	v_cndmask_b32_e64 v13, 0, 1, vcc
	v_lshrrev_b64 v[4:5], v13, v[4:5]
; %bb.239:
	s_andn2_saveexec_b64 s[0:1], s[0:1]
; %bb.240:
	v_bfe_u32 v29, v4, 23, 1
; %bb.241:
	s_or_b64 exec, exec, s[0:1]
	v_lshrrev_b64 v[4:5], 20, v[4:5]
	v_cmp_gt_i32_e32 vcc, 16, v29
	v_cndmask_b32_e32 v5, 0, v5, vcc
	v_cndmask_b32_e32 v4, 7, v4, vcc
	v_cmp_ne_u32_e32 vcc, 0, v29
	v_cmp_ne_u64_e64 s[0:1], 0, v[4:5]
	s_or_b64 s[0:1], vcc, s[0:1]
                                        ; implicit-def: $vgpr13
	s_and_saveexec_b64 s[18:19], s[0:1]
	s_xor_b64 s[0:1], exec, s[18:19]
; %bb.242:
	v_min_i32_e32 v5, 15, v29
	v_lshl_or_b32 v5, v5, 3, v28
	v_and_or_b32 v13, v4, 7, v5
                                        ; implicit-def: $vgpr28
; %bb.243:
	s_andn2_saveexec_b64 s[0:1], s[0:1]
; %bb.244:
	v_mov_b32_e32 v13, v28
; %bb.245:
	s_or_b64 exec, exec, s[0:1]
.LBB4_246:
	s_or_b64 exec, exec, s[16:17]
.LBB4_247:
	s_andn2_saveexec_b64 s[0:1], s[14:15]
	s_or_b64 exec, exec, s[0:1]
                                        ; implicit-def: $vgpr29
                                        ; implicit-def: $vgpr4_vgpr5
.LBB4_248:
	s_andn2_saveexec_b64 s[0:1], s[8:9]
; %bb.249:
	s_movk_i32 s8, 0x7f
	v_or_b32_sdwa v28, v29, s8 dst_sel:DWORD dst_unused:UNUSED_PAD src0_sel:BYTE_3 src1_sel:DWORD
	v_cmp_eq_u64_e32 vcc, 0, v[4:5]
	v_cndmask_b32_e32 v13, v28, v13, vcc
; %bb.250:
	s_or_b64 exec, exec, s[0:1]
	v_mul_f32_e32 v4, v9, v11
	v_max_f32_e32 v4, 0xc3e00000, v4
	v_min_f32_e32 v29, 0x43e00000, v4
	v_mov_b32_e32 v5, 0
	s_movk_i32 s0, 0x80
	v_and_b32_sdwa v28, v29, s0 dst_sel:DWORD dst_unused:UNUSED_PAD src0_sel:BYTE_3 src1_sel:DWORD
	v_and_b32_e32 v30, 0x7f800000, v29
	v_mov_b32_e32 v31, v5
	s_mov_b64 s[0:1], 0x7f800000
	v_and_b32_e32 v4, 0x7fffff, v29
	v_or_b32_e32 v11, 0x7e, v28
	v_cmp_ne_u64_e32 vcc, s[0:1], v[30:31]
	s_and_saveexec_b64 s[0:1], vcc
	s_xor_b64 s[8:9], exec, s[0:1]
	s_cbranch_execz .LBB4_264
; %bb.251:
	v_and_b32_e32 v30, 0x7fffffff, v29
	v_mov_b32_e32 v31, v5
	s_mov_b64 s[0:1], 0x43e00001
	v_cmp_gt_u64_e32 vcc, s[0:1], v[30:31]
	s_and_saveexec_b64 s[0:1], vcc
	s_xor_b64 s[14:15], exec, s[0:1]
	s_cbranch_execz .LBB4_263
; %bb.252:
	v_cmp_ne_u32_e32 vcc, 0, v29
	v_mov_b32_e32 v11, 0
	s_and_saveexec_b64 s[16:17], vcc
	s_cbranch_execz .LBB4_262
; %bb.253:
	v_bfe_u32 v11, v29, 23, 8
	s_movk_i32 s0, 0x7a
	v_sub_u32_e32 v30, 0x79, v11
	v_cmp_gt_u32_e32 vcc, s0, v11
	v_add_u32_e32 v29, 0xffffff81, v11
	v_cndmask_b32_e32 v30, 0, v30, vcc
	v_mov_b32_e32 v32, 0xffffff82
	v_cmp_eq_u32_e32 vcc, 0, v11
	v_cndmask_b32_e32 v11, v29, v32, vcc
	v_mov_b32_e32 v29, 0x78
	v_cndmask_b32_e32 v29, v30, v29, vcc
	v_or_b32_e32 v31, 0x800000, v4
	v_add_u32_e32 v30, 20, v29
	v_cndmask_b32_e32 v4, v31, v4, vcc
	v_lshlrev_b64 v[30:31], v30, -1
	v_not_b32_e32 v30, v30
	v_and_b32_e32 v32, v4, v30
	v_add_u32_e32 v30, 19, v29
	v_lshrrev_b64 v[4:5], v29, v[4:5]
	v_not_b32_e32 v31, v31
	v_lshlrev_b64 v[34:35], v30, 1
	v_lshrrev_b32_e32 v30, 23, v4
	v_and_b32_e32 v33, 0, v31
	v_add3_u32 v30, v29, v11, v30
	v_bfe_u32 v29, v4, 20, 1
	v_add_u32_e32 v29, -1, v29
	v_cmp_eq_u64_e32 vcc, v[32:33], v[34:35]
	v_cndmask_b32_e32 v29, 0, v29, vcc
	v_add_u32_e32 v29, v29, v4
	v_and_b32_e32 v29, 0xfffff, v29
	v_add_co_u32_e32 v4, vcc, v29, v4
	v_add_u32_e32 v11, 6, v30
	v_addc_co_u32_e32 v5, vcc, 0, v5, vcc
	v_cmp_ne_u32_e32 vcc, 0, v11
                                        ; implicit-def: $vgpr29
	s_and_saveexec_b64 s[0:1], vcc
	s_xor_b64 s[0:1], exec, s[0:1]
; %bb.254:
	s_mov_b64 s[18:19], 0xffffff
	v_add_u32_e32 v29, 7, v30
	v_cmp_lt_u64_e32 vcc, s[18:19], v[4:5]
	v_cndmask_b32_e32 v29, v11, v29, vcc
	v_cndmask_b32_e64 v11, 0, 1, vcc
	v_lshrrev_b64 v[4:5], v11, v[4:5]
; %bb.255:
	s_andn2_saveexec_b64 s[0:1], s[0:1]
; %bb.256:
	v_bfe_u32 v29, v4, 23, 1
; %bb.257:
	s_or_b64 exec, exec, s[0:1]
	v_lshrrev_b64 v[4:5], 20, v[4:5]
	v_cmp_gt_i32_e32 vcc, 16, v29
	v_cndmask_b32_e32 v5, 0, v5, vcc
	v_cndmask_b32_e32 v4, 7, v4, vcc
	v_cmp_ne_u32_e32 vcc, 0, v29
	v_cmp_ne_u64_e64 s[0:1], 0, v[4:5]
	s_or_b64 s[0:1], vcc, s[0:1]
                                        ; implicit-def: $vgpr11
	s_and_saveexec_b64 s[18:19], s[0:1]
	s_xor_b64 s[0:1], exec, s[18:19]
; %bb.258:
	v_min_i32_e32 v5, 15, v29
	v_lshl_or_b32 v5, v5, 3, v28
	v_and_or_b32 v11, v4, 7, v5
                                        ; implicit-def: $vgpr28
; %bb.259:
	s_andn2_saveexec_b64 s[0:1], s[0:1]
; %bb.260:
	v_mov_b32_e32 v11, v28
; %bb.261:
	s_or_b64 exec, exec, s[0:1]
.LBB4_262:
	s_or_b64 exec, exec, s[16:17]
.LBB4_263:
	s_andn2_saveexec_b64 s[0:1], s[14:15]
	s_or_b64 exec, exec, s[0:1]
                                        ; implicit-def: $vgpr29
                                        ; implicit-def: $vgpr4_vgpr5
.LBB4_264:
	s_andn2_saveexec_b64 s[0:1], s[8:9]
; %bb.265:
	s_movk_i32 s8, 0x7f
	v_or_b32_sdwa v28, v29, s8 dst_sel:DWORD dst_unused:UNUSED_PAD src0_sel:BYTE_3 src1_sel:DWORD
	v_cmp_eq_u64_e32 vcc, 0, v[4:5]
	v_cndmask_b32_e32 v11, v28, v11, vcc
; %bb.266:
	s_or_b64 exec, exec, s[0:1]
	v_mul_f32_e32 v4, v9, v8
	v_max_f32_e32 v4, 0xc3e00000, v4
	v_min_f32_e32 v28, 0x43e00000, v4
	v_mov_b32_e32 v5, 0
	s_movk_i32 s0, 0x80
	v_and_b32_sdwa v8, v28, s0 dst_sel:DWORD dst_unused:UNUSED_PAD src0_sel:BYTE_3 src1_sel:DWORD
	v_and_b32_e32 v30, 0x7f800000, v28
	v_mov_b32_e32 v31, v5
	s_mov_b64 s[0:1], 0x7f800000
	v_and_b32_e32 v4, 0x7fffff, v28
	v_or_b32_e32 v9, 0x7e, v8
	v_cmp_ne_u64_e32 vcc, s[0:1], v[30:31]
	s_and_saveexec_b64 s[0:1], vcc
	s_xor_b64 s[8:9], exec, s[0:1]
	s_cbranch_execz .LBB4_280
; %bb.267:
	v_and_b32_e32 v30, 0x7fffffff, v28
	v_mov_b32_e32 v31, v5
	s_mov_b64 s[0:1], 0x43e00001
	v_cmp_gt_u64_e32 vcc, s[0:1], v[30:31]
	s_and_saveexec_b64 s[0:1], vcc
	s_xor_b64 s[14:15], exec, s[0:1]
	s_cbranch_execz .LBB4_279
; %bb.268:
	v_cmp_ne_u32_e32 vcc, 0, v28
	v_mov_b32_e32 v9, 0
	s_and_saveexec_b64 s[16:17], vcc
	s_cbranch_execz .LBB4_278
; %bb.269:
	v_bfe_u32 v9, v28, 23, 8
	s_movk_i32 s0, 0x7a
	v_sub_u32_e32 v29, 0x79, v9
	v_cmp_gt_u32_e32 vcc, s0, v9
	v_add_u32_e32 v28, 0xffffff81, v9
	v_cndmask_b32_e32 v29, 0, v29, vcc
	v_mov_b32_e32 v31, 0xffffff82
	v_cmp_eq_u32_e32 vcc, 0, v9
	v_cndmask_b32_e32 v9, v28, v31, vcc
	v_mov_b32_e32 v28, 0x78
	v_cndmask_b32_e32 v34, v29, v28, vcc
	v_add_u32_e32 v28, 20, v34
	v_or_b32_e32 v30, 0x800000, v4
	v_lshlrev_b64 v[28:29], v28, -1
	v_cndmask_b32_e32 v4, v30, v4, vcc
	v_not_b32_e32 v28, v28
	v_and_b32_e32 v30, v4, v28
	v_add_u32_e32 v28, 19, v34
	v_lshrrev_b64 v[4:5], v34, v[4:5]
	v_not_b32_e32 v29, v29
	v_lshlrev_b64 v[32:33], v28, 1
	v_lshrrev_b32_e32 v28, 23, v4
	v_and_b32_e32 v31, 0, v29
	v_add3_u32 v29, v34, v9, v28
	v_bfe_u32 v28, v4, 20, 1
	v_add_u32_e32 v28, -1, v28
	v_cmp_eq_u64_e32 vcc, v[30:31], v[32:33]
	v_cndmask_b32_e32 v28, 0, v28, vcc
	v_add_u32_e32 v28, v28, v4
	v_and_b32_e32 v28, 0xfffff, v28
	v_add_co_u32_e32 v4, vcc, v28, v4
	v_add_u32_e32 v9, 6, v29
	v_addc_co_u32_e32 v5, vcc, 0, v5, vcc
	v_cmp_ne_u32_e32 vcc, 0, v9
                                        ; implicit-def: $vgpr28
	s_and_saveexec_b64 s[0:1], vcc
	s_xor_b64 s[0:1], exec, s[0:1]
; %bb.270:
	s_mov_b64 s[18:19], 0xffffff
	v_add_u32_e32 v28, 7, v29
	v_cmp_lt_u64_e32 vcc, s[18:19], v[4:5]
	v_cndmask_b32_e32 v28, v9, v28, vcc
	v_cndmask_b32_e64 v9, 0, 1, vcc
	v_lshrrev_b64 v[4:5], v9, v[4:5]
; %bb.271:
	s_andn2_saveexec_b64 s[0:1], s[0:1]
; %bb.272:
	v_bfe_u32 v28, v4, 23, 1
; %bb.273:
	s_or_b64 exec, exec, s[0:1]
	v_lshrrev_b64 v[4:5], 20, v[4:5]
	v_cmp_gt_i32_e32 vcc, 16, v28
	v_cndmask_b32_e32 v5, 0, v5, vcc
	v_cndmask_b32_e32 v4, 7, v4, vcc
	v_cmp_ne_u32_e32 vcc, 0, v28
	v_cmp_ne_u64_e64 s[0:1], 0, v[4:5]
	s_or_b64 s[0:1], vcc, s[0:1]
                                        ; implicit-def: $vgpr9
	s_and_saveexec_b64 s[18:19], s[0:1]
	s_xor_b64 s[0:1], exec, s[18:19]
; %bb.274:
	v_min_i32_e32 v5, 15, v28
	v_lshl_or_b32 v5, v5, 3, v8
	v_and_or_b32 v9, v4, 7, v5
                                        ; implicit-def: $vgpr8
; %bb.275:
	s_andn2_saveexec_b64 s[0:1], s[0:1]
; %bb.276:
	v_mov_b32_e32 v9, v8
; %bb.277:
	s_or_b64 exec, exec, s[0:1]
.LBB4_278:
	s_or_b64 exec, exec, s[16:17]
.LBB4_279:
	s_andn2_saveexec_b64 s[0:1], s[14:15]
	s_or_b64 exec, exec, s[0:1]
                                        ; implicit-def: $vgpr28
                                        ; implicit-def: $vgpr4_vgpr5
.LBB4_280:
	s_andn2_saveexec_b64 s[0:1], s[8:9]
; %bb.281:
	s_movk_i32 s8, 0x7f
	v_or_b32_sdwa v8, v28, s8 dst_sel:DWORD dst_unused:UNUSED_PAD src0_sel:BYTE_3 src1_sel:DWORD
	v_cmp_eq_u64_e32 vcc, 0, v[4:5]
	v_cndmask_b32_e32 v9, v8, v9, vcc
; %bb.282:
	s_or_b64 exec, exec, s[0:1]
	v_mov_b32_e32 v8, 0x240
	v_lshlrev_b64 v[4:5], 3, v[18:19]
	v_mad_i64_i32 v[18:19], s[0:1], s20, v8, v[20:21]
	v_add_co_u32_e32 v4, vcc, v18, v4
	v_addc_co_u32_e32 v5, vcc, v19, v5, vcc
	v_add_co_u32_e32 v2, vcc, v2, v1
	v_lshlrev_b16_e32 v1, 8, v13
	v_lshlrev_b16_e32 v8, 8, v9
	v_or_b32_sdwa v1, v15, v1 dst_sel:DWORD dst_unused:UNUSED_PAD src0_sel:BYTE_0 src1_sel:DWORD
	v_or_b32_sdwa v8, v11, v8 dst_sel:WORD_1 dst_unused:UNUSED_PAD src0_sel:BYTE_0 src1_sel:DWORD
	v_or_b32_sdwa v19, v1, v8 dst_sel:DWORD dst_unused:UNUSED_PAD src0_sel:WORD_0 src1_sel:DWORD
	v_lshlrev_b16_e32 v1, 8, v25
	v_lshlrev_b16_e32 v8, 8, v22
	v_or_b32_sdwa v1, v27, v1 dst_sel:DWORD dst_unused:UNUSED_PAD src0_sel:BYTE_0 src1_sel:DWORD
	v_or_b32_sdwa v8, v23, v8 dst_sel:WORD_1 dst_unused:UNUSED_PAD src0_sel:BYTE_0 src1_sel:DWORD
	v_or_b32_sdwa v18, v1, v8 dst_sel:DWORD dst_unused:UNUSED_PAD src0_sel:WORD_0 src1_sel:DWORD
	;; [unrolled: 5-line block ×3, first 2 shown]
	v_lshlrev_b16_e32 v1, 8, v10
	v_or_b32_sdwa v1, v7, v1 dst_sel:DWORD dst_unused:UNUSED_PAD src0_sel:BYTE_0 src1_sel:DWORD
	v_lshlrev_b16_e32 v7, 8, v14
	v_addc_co_u32_e32 v3, vcc, 0, v3, vcc
	v_or_b32_sdwa v7, v12, v7 dst_sel:WORD_1 dst_unused:UNUSED_PAD src0_sel:BYTE_0 src1_sel:DWORD
	v_and_b32_e32 v0, 3, v0
	v_or_b32_sdwa v16, v1, v7 dst_sel:DWORD dst_unused:UNUSED_PAD src0_sel:WORD_0 src1_sel:DWORD
	v_cmp_eq_u32_e32 vcc, 0, v0
	global_store_dwordx4 v[2:3], v[16:19], off
	s_and_saveexec_b64 s[0:1], vcc
	s_cbranch_execz .LBB4_284
; %bb.283:
	v_add_f32_e32 v1, 0x42fe0000, v6
	v_min_f32_e32 v1, 0x437f0000, v1
	v_max_f32_e32 v1, 0, v1
	v_cvt_i32_f32_e32 v2, v1
	v_lshrrev_b32_e32 v0, 2, v38
	v_add_co_u32_e32 v0, vcc, v4, v0
	v_addc_co_u32_e32 v1, vcc, 0, v5, vcc
	global_store_byte v[0:1], v2, off
.LBB4_284:
	s_or_b64 exec, exec, s[0:1]
	v_cmp_eq_u32_e32 vcc, 0, v38
	s_and_saveexec_b64 s[0:1], vcc
	s_cbranch_execz .LBB4_286
; %bb.285:
	v_mov_b32_e32 v0, 0
	global_store_byte v[4:5], v0, off offset:7
.LBB4_286:
	s_or_b64 exec, exec, s[0:1]
                                        ; implicit-def: $vgpr1
                                        ; implicit-def: $vgpr33
                                        ; implicit-def: $vgpr34
                                        ; implicit-def: $vgpr4
                                        ; implicit-def: $vgpr5
                                        ; implicit-def: $vgpr6
                                        ; implicit-def: $vgpr7
                                        ; implicit-def: $vgpr36
                                        ; implicit-def: $vgpr37
                                        ; implicit-def: $vgpr9
                                        ; implicit-def: $vgpr10
                                        ; implicit-def: $vgpr12
                                        ; implicit-def: $vgpr39
                                        ; implicit-def: $vgpr14
                                        ; implicit-def: $vgpr40
                                        ; implicit-def: $vgpr16
                                        ; implicit-def: $vgpr17
                                        ; implicit-def: $vgpr2_vgpr3
.LBB4_287:
	s_andn2_saveexec_b64 s[0:1], s[2:3]
                                        ; implicit-def: $vgpr35
	s_cbranch_execz .LBB4_289
; %bb.288:
	v_lshlrev_b32_e32 v0, 1, v1
	v_add_co_u32_e32 v18, vcc, v2, v0
	s_mov_b32 s0, 0x5040100
	v_addc_co_u32_e32 v19, vcc, 0, v3, vcc
	v_perm_b32 v3, v37, v36, s0
	v_perm_b32 v2, v7, v6, s0
	;; [unrolled: 1-line block ×4, first 2 shown]
	global_store_dwordx4 v[18:19], v[0:3], off offset:-448
	s_nop 0
	v_perm_b32 v3, v17, v16, s0
	v_perm_b32 v2, v40, v14, s0
	;; [unrolled: 1-line block ×4, first 2 shown]
	global_store_dwordx4 v[18:19], v[0:3], off offset:-432
.LBB4_289:
	s_or_b64 exec, exec, s[10:11]
                                        ; implicit-def: $vgpr2_vgpr3_vgpr4_vgpr5_vgpr6_vgpr7_vgpr8_vgpr9_vgpr10_vgpr11_vgpr12_vgpr13_vgpr14_vgpr15_vgpr16_vgpr17
                                        ; implicit-def: $vgpr34
                                        ; implicit-def: $vgpr36
                                        ; implicit-def: $vgpr1
	s_andn2_saveexec_b64 s[0:1], s[12:13]
	s_cbranch_execnz .LBB4_17
	s_branch .LBB4_18
	.section	.rodata,"a",@progbits
	.p2align	6, 0x0
	.amdhsa_kernel _ZN4vllm21deepseek_v4_fused_ops47fusedDeepseekV4QNormRopeKVRopeQuantInsertKernelIN3c104HalfELi128EEEvPKT_PS4_S6_PhPKlSA_PKffiiiii
		.amdhsa_group_segment_fixed_size 0
		.amdhsa_private_segment_fixed_size 0
		.amdhsa_kernarg_size 336
		.amdhsa_user_sgpr_count 6
		.amdhsa_user_sgpr_private_segment_buffer 1
		.amdhsa_user_sgpr_dispatch_ptr 0
		.amdhsa_user_sgpr_queue_ptr 0
		.amdhsa_user_sgpr_kernarg_segment_ptr 1
		.amdhsa_user_sgpr_dispatch_id 0
		.amdhsa_user_sgpr_flat_scratch_init 0
		.amdhsa_user_sgpr_kernarg_preload_length 0
		.amdhsa_user_sgpr_kernarg_preload_offset 0
		.amdhsa_user_sgpr_private_segment_size 0
		.amdhsa_uses_dynamic_stack 0
		.amdhsa_system_sgpr_private_segment_wavefront_offset 0
		.amdhsa_system_sgpr_workgroup_id_x 1
		.amdhsa_system_sgpr_workgroup_id_y 0
		.amdhsa_system_sgpr_workgroup_id_z 0
		.amdhsa_system_sgpr_workgroup_info 0
		.amdhsa_system_vgpr_workitem_id 0
		.amdhsa_next_free_vgpr 48
		.amdhsa_next_free_sgpr 28
		.amdhsa_accum_offset 48
		.amdhsa_reserve_vcc 1
		.amdhsa_reserve_flat_scratch 0
		.amdhsa_float_round_mode_32 0
		.amdhsa_float_round_mode_16_64 0
		.amdhsa_float_denorm_mode_32 3
		.amdhsa_float_denorm_mode_16_64 3
		.amdhsa_dx10_clamp 1
		.amdhsa_ieee_mode 1
		.amdhsa_fp16_overflow 0
		.amdhsa_tg_split 0
		.amdhsa_exception_fp_ieee_invalid_op 0
		.amdhsa_exception_fp_denorm_src 0
		.amdhsa_exception_fp_ieee_div_zero 0
		.amdhsa_exception_fp_ieee_overflow 0
		.amdhsa_exception_fp_ieee_underflow 0
		.amdhsa_exception_fp_ieee_inexact 0
		.amdhsa_exception_int_div_zero 0
	.end_amdhsa_kernel
	.section	.text._ZN4vllm21deepseek_v4_fused_ops47fusedDeepseekV4QNormRopeKVRopeQuantInsertKernelIN3c104HalfELi128EEEvPKT_PS4_S6_PhPKlSA_PKffiiiii,"axG",@progbits,_ZN4vllm21deepseek_v4_fused_ops47fusedDeepseekV4QNormRopeKVRopeQuantInsertKernelIN3c104HalfELi128EEEvPKT_PS4_S6_PhPKlSA_PKffiiiii,comdat
.Lfunc_end4:
	.size	_ZN4vllm21deepseek_v4_fused_ops47fusedDeepseekV4QNormRopeKVRopeQuantInsertKernelIN3c104HalfELi128EEEvPKT_PS4_S6_PhPKlSA_PKffiiiii, .Lfunc_end4-_ZN4vllm21deepseek_v4_fused_ops47fusedDeepseekV4QNormRopeKVRopeQuantInsertKernelIN3c104HalfELi128EEEvPKT_PS4_S6_PhPKlSA_PKffiiiii
                                        ; -- End function
	.section	.AMDGPU.csdata,"",@progbits
; Kernel info:
; codeLenInByte = 11616
; NumSgprs: 32
; NumVgprs: 48
; NumAgprs: 0
; TotalNumVgprs: 48
; ScratchSize: 0
; MemoryBound: 1
; FloatMode: 240
; IeeeMode: 1
; LDSByteSize: 0 bytes/workgroup (compile time only)
; SGPRBlocks: 3
; VGPRBlocks: 5
; NumSGPRsForWavesPerEU: 32
; NumVGPRsForWavesPerEU: 48
; AccumOffset: 48
; Occupancy: 8
; WaveLimiterHint : 1
; COMPUTE_PGM_RSRC2:SCRATCH_EN: 0
; COMPUTE_PGM_RSRC2:USER_SGPR: 6
; COMPUTE_PGM_RSRC2:TRAP_HANDLER: 0
; COMPUTE_PGM_RSRC2:TGID_X_EN: 1
; COMPUTE_PGM_RSRC2:TGID_Y_EN: 0
; COMPUTE_PGM_RSRC2:TGID_Z_EN: 0
; COMPUTE_PGM_RSRC2:TIDIG_COMP_CNT: 0
; COMPUTE_PGM_RSRC3_GFX90A:ACCUM_OFFSET: 11
; COMPUTE_PGM_RSRC3_GFX90A:TG_SPLIT: 0
	.section	.text._ZN4vllm21deepseek_v4_fused_ops47fusedDeepseekV4QNormRopeKVRopeQuantInsertKernelIN3c108BFloat16ELi8EEEvPKT_PS4_S6_PhPKlSA_PKffiiiii,"axG",@progbits,_ZN4vllm21deepseek_v4_fused_ops47fusedDeepseekV4QNormRopeKVRopeQuantInsertKernelIN3c108BFloat16ELi8EEEvPKT_PS4_S6_PhPKlSA_PKffiiiii,comdat
	.protected	_ZN4vllm21deepseek_v4_fused_ops47fusedDeepseekV4QNormRopeKVRopeQuantInsertKernelIN3c108BFloat16ELi8EEEvPKT_PS4_S6_PhPKlSA_PKffiiiii ; -- Begin function _ZN4vllm21deepseek_v4_fused_ops47fusedDeepseekV4QNormRopeKVRopeQuantInsertKernelIN3c108BFloat16ELi8EEEvPKT_PS4_S6_PhPKlSA_PKffiiiii
	.globl	_ZN4vllm21deepseek_v4_fused_ops47fusedDeepseekV4QNormRopeKVRopeQuantInsertKernelIN3c108BFloat16ELi8EEEvPKT_PS4_S6_PhPKlSA_PKffiiiii
	.p2align	8
	.type	_ZN4vllm21deepseek_v4_fused_ops47fusedDeepseekV4QNormRopeKVRopeQuantInsertKernelIN3c108BFloat16ELi8EEEvPKT_PS4_S6_PhPKlSA_PKffiiiii,@function
_ZN4vllm21deepseek_v4_fused_ops47fusedDeepseekV4QNormRopeKVRopeQuantInsertKernelIN3c108BFloat16ELi8EEEvPKT_PS4_S6_PhPKlSA_PKffiiiii: ; @_ZN4vllm21deepseek_v4_fused_ops47fusedDeepseekV4QNormRopeKVRopeQuantInsertKernelIN3c108BFloat16ELi8EEEvPKT_PS4_S6_PhPKlSA_PKffiiiii
; %bb.0:
	s_load_dword s0, s[4:5], 0x5c
	s_load_dwordx4 s[16:19], s[4:5], 0x38
	v_lshrrev_b32_e32 v1, 5, v0
	s_waitcnt lgkmcnt(0)
	s_bfe_u32 s0, s0, 0xb0005
	s_mul_i32 s6, s6, s0
	v_add_u32_e32 v1, s6, v1
	s_mov_b32 s0, 0x38e38e39
	v_mul_hi_i32 v2, v1, s0
	v_lshrrev_b32_e32 v3, 31, v2
	v_ashrrev_i32_e32 v2, 1, v2
	v_add_u32_e32 v10, v2, v3
	v_cmp_gt_i32_e32 vcc, s17, v10
	s_and_saveexec_b64 s[0:1], vcc
	s_cbranch_execz .LBB5_10
; %bb.1:
	s_load_dwordx2 s[20:21], s[4:5], 0x48
	v_lshl_add_u32 v2, v10, 3, v10
	v_sub_u32_e32 v44, v1, v2
	v_cmp_ne_u32_e64 s[0:1], 8, v44
	v_cmp_gt_i32_e64 s[2:3], s18, v10
	v_cmp_eq_u32_e32 vcc, 8, v44
	s_or_b64 s[2:3], s[0:1], s[2:3]
	s_and_b64 exec, exec, s[2:3]
	s_cbranch_execz .LBB5_10
; %bb.2:
	s_load_dwordx2 s[6:7], s[4:5], 0x8
	s_load_dwordx8 s[8:15], s[4:5], 0x18
	v_cmp_gt_i32_e64 s[2:3], s19, v44
	s_xor_b64 s[22:23], s[0:1], -1
	v_and_b32_e32 v47, 31, v0
	s_or_b64 s[22:23], s[22:23], s[2:3]
	v_lshlrev_b32_e32 v46, 4, v47
	v_ashrrev_i32_e32 v11, 31, v10
                                        ; implicit-def: $vgpr9
                                        ; implicit-def: $vgpr5
	s_and_saveexec_b64 s[24:25], s[22:23]
	s_cbranch_execz .LBB5_11
; %bb.3:
                                        ; implicit-def: $vgpr12_vgpr13
	s_and_saveexec_b64 s[2:3], vcc
	s_xor_b64 s[26:27], exec, s[2:3]
	s_cbranch_execz .LBB5_5
; %bb.4:
	s_load_dwordx2 s[2:3], s[4:5], 0x10
	v_lshlrev_b64 v[2:3], 10, v[10:11]
	s_waitcnt lgkmcnt(0)
	v_mov_b32_e32 v1, s3
	v_add_co_u32_e64 v2, s[2:3], s2, v2
	v_addc_co_u32_e64 v1, s[2:3], v1, v3, s[2:3]
	v_lshlrev_b32_e32 v3, 1, v46
	v_add_co_u32_e64 v12, s[2:3], v2, v3
	v_addc_co_u32_e64 v13, s[2:3], 0, v1, s[2:3]
.LBB5_5:
	s_andn2_saveexec_b64 s[26:27], s[26:27]
	s_cbranch_execz .LBB5_7
; %bb.6:
	s_load_dwordx2 s[2:3], s[4:5], 0x0
	v_ashrrev_i32_e32 v45, 31, v44
	v_mad_i64_i32 v[2:3], s[4:5], v10, s19, v[44:45]
	v_lshlrev_b64 v[2:3], 10, v[2:3]
	v_lshl_or_b32 v1, v46, 1, v2
	s_waitcnt lgkmcnt(0)
	v_mov_b32_e32 v2, s3
	v_add_co_u32_e64 v12, s[2:3], s2, v1
	v_addc_co_u32_e64 v13, s[2:3], v2, v3, s[2:3]
.LBB5_7:
	s_or_b64 exec, exec, s[26:27]
	global_load_dwordx4 v[6:9], v[12:13], off
	global_load_dwordx4 v[2:5], v[12:13], off offset:16
	s_or_b64 exec, exec, s[24:25]
	s_and_saveexec_b64 s[2:3], s[22:23]
	s_xor_b64 s[4:5], exec, s[2:3]
	s_cbranch_execnz .LBB5_12
.LBB5_8:
	s_andn2_saveexec_b64 s[0:1], s[4:5]
	s_cbranch_execz .LBB5_10
.LBB5_9:
	v_lshlrev_b64 v[0:1], 13, v[10:11]
	v_ashrrev_i32_e32 v45, 31, v44
	s_waitcnt vmcnt(0) lgkmcnt(0)
	v_mov_b32_e32 v2, s7
	v_add_co_u32_e32 v3, vcc, s6, v0
	v_addc_co_u32_e32 v2, vcc, v2, v1, vcc
	v_lshlrev_b64 v[0:1], 10, v[44:45]
	v_add_co_u32_e32 v0, vcc, v3, v0
	v_addc_co_u32_e32 v1, vcc, v2, v1, vcc
	v_lshlrev_b32_e32 v2, 1, v46
	s_mov_b32 s0, 0
	v_add_co_u32_e32 v4, vcc, v0, v2
	s_mov_b32 s1, s0
	v_addc_co_u32_e32 v5, vcc, 0, v1, vcc
	s_mov_b32 s2, s0
	s_mov_b32 s3, s0
	v_pk_mov_b32 v[0:1], s[0:1], s[0:1] op_sel:[0,1]
	v_pk_mov_b32 v[2:3], s[2:3], s[2:3] op_sel:[0,1]
	global_store_dwordx4 v[4:5], v[0:3], off
	global_store_dwordx4 v[4:5], v[0:3], off offset:16
.LBB5_10:
	s_endpgm
.LBB5_11:
	s_or_b64 exec, exec, s[24:25]
	s_and_saveexec_b64 s[2:3], s[22:23]
	s_xor_b64 s[4:5], exec, s[2:3]
	s_cbranch_execz .LBB5_8
.LBB5_12:
	s_waitcnt vmcnt(1)
	v_and_b32_e32 v13, 0xffff0000, v6
	v_lshlrev_b32_e32 v12, 16, v6
	v_and_b32_e32 v15, 0xffff0000, v7
	v_lshlrev_b32_e32 v14, 16, v7
	;; [unrolled: 2-line block ×4, first 2 shown]
	s_waitcnt vmcnt(0)
	v_and_b32_e32 v21, 0xffff0000, v2
	v_lshlrev_b32_e32 v20, 16, v2
	v_and_b32_e32 v23, 0xffff0000, v3
	v_lshlrev_b32_e32 v22, 16, v3
	;; [unrolled: 2-line block ×4, first 2 shown]
	s_and_saveexec_b64 s[2:3], s[0:1]
	s_cbranch_execz .LBB5_14
; %bb.13:
	v_pk_mul_f32 v[2:3], v[12:13], v[12:13]
	v_pk_mul_f32 v[4:5], v[14:15], v[14:15]
	v_add_f32_e32 v1, v2, v3
	v_add_f32_e32 v1, v4, v1
	v_pk_mul_f32 v[6:7], v[16:17], v[16:17]
	v_add_f32_e32 v1, v5, v1
	v_add_f32_e32 v1, v6, v1
	;; [unrolled: 3-line block ×4, first 2 shown]
	v_pk_mul_f32 v[30:31], v[22:23], v[22:23]
	v_add_f32_e32 v1, v29, v1
	v_mbcnt_lo_u32_b32 v2, -1, 0
	v_add_f32_e32 v1, v30, v1
	v_mbcnt_hi_u32_b32 v2, -1, v2
	v_pk_mul_f32 v[32:33], v[24:25], v[24:25]
	v_add_f32_e32 v1, v31, v1
	v_and_b32_e32 v3, 0x60, v2
	v_add_f32_e32 v1, v32, v1
	v_add_u32_e32 v3, 32, v3
	v_xor_b32_e32 v4, 16, v2
	v_pk_mul_f32 v[34:35], v[26:27], v[26:27]
	v_add_f32_e32 v1, v33, v1
	v_cmp_lt_i32_e64 s[0:1], v4, v3
	v_add_f32_e32 v1, v34, v1
	v_cndmask_b32_e64 v4, v2, v4, s[0:1]
	v_add_f32_e32 v1, v35, v1
	v_lshlrev_b32_e32 v4, 2, v4
	ds_bpermute_b32 v4, v4, v1
	s_waitcnt lgkmcnt(0)
	v_add_f32_e32 v1, v1, v4
	v_xor_b32_e32 v4, 8, v2
	v_cmp_lt_i32_e64 s[0:1], v4, v3
	v_cndmask_b32_e64 v4, v2, v4, s[0:1]
	v_lshlrev_b32_e32 v4, 2, v4
	ds_bpermute_b32 v4, v4, v1
	s_waitcnt lgkmcnt(0)
	v_add_f32_e32 v1, v1, v4
	v_xor_b32_e32 v4, 4, v2
	v_cmp_lt_i32_e64 s[0:1], v4, v3
	v_cndmask_b32_e64 v4, v2, v4, s[0:1]
	;; [unrolled: 7-line block ×4, first 2 shown]
	v_lshlrev_b32_e32 v2, 2, v2
	ds_bpermute_b32 v2, v2, v1
	s_mov_b32 s0, 0x800000
	s_waitcnt lgkmcnt(0)
	v_add_f32_e32 v1, v1, v2
	v_mov_b32_e32 v2, s16
	v_fmac_f32_e32 v2, 0x3b000000, v1
	v_mul_f32_e32 v1, 0x4b800000, v2
	v_cmp_gt_f32_e64 s[0:1], s0, v2
	v_cndmask_b32_e64 v1, v2, v1, s[0:1]
	v_rsq_f32_e32 v1, v1
	v_mul_f32_e32 v2, 0x45800000, v1
	v_cndmask_b32_e64 v2, v1, v2, s[0:1]
	v_pk_mul_f32 v[26:27], v[2:3], v[26:27] op_sel_hi:[0,1]
	v_pk_mul_f32 v[24:25], v[2:3], v[24:25] op_sel_hi:[0,1]
	;; [unrolled: 1-line block ×8, first 2 shown]
.LBB5_14:
	s_or_b64 exec, exec, s[2:3]
	v_cmp_gt_u32_e64 s[0:1], 28, v47
	v_cmp_lt_u32_e64 s[2:3], 27, v47
	s_and_saveexec_b64 s[16:17], s[2:3]
	s_cbranch_execz .LBB5_18
; %bb.15:
	v_lshlrev_b64 v[2:3], 3, v[10:11]
	s_waitcnt lgkmcnt(0)
	v_mov_b32_e32 v1, s13
	v_add_co_u32_e64 v2, s[2:3], s12, v2
	v_addc_co_u32_e64 v3, s[2:3], v1, v3, s[2:3]
	global_load_dwordx2 v[2:3], v[2:3], off
	v_add_u32_e32 v4, 0xfffffe40, v46
	v_mov_b32_e32 v1, s15
	v_mov_b32_e32 v5, 0
	v_lshrrev_b32_e32 v4, 1, v4
	v_lshlrev_b64 v[4:5], 2, v[4:5]
	s_waitcnt vmcnt(0)
	v_lshlrev_b64 v[2:3], 8, v[2:3]
	v_add_co_u32_e64 v2, s[2:3], s14, v2
	v_addc_co_u32_e64 v1, s[2:3], v1, v3, s[2:3]
	v_add_co_u32_e64 v28, s[2:3], v2, v4
	v_addc_co_u32_e64 v29, s[2:3], v1, v5, s[2:3]
	global_load_dwordx4 v[2:5], v[28:29], off offset:128
	global_load_dwordx4 v[6:9], v[28:29], off offset:144
	global_load_dwordx4 v[48:51], v[28:29], off
	global_load_dwordx4 v[52:55], v[28:29], off offset:16
	s_waitcnt vmcnt(3)
	v_mul_f32_e32 v1, v13, v2
	v_mul_f32_e32 v29, v12, v2
	;; [unrolled: 1-line block ×8, first 2 shown]
	s_waitcnt vmcnt(2)
	v_mul_f32_e32 v5, v21, v6
	v_mul_f32_e32 v37, v20, v6
	;; [unrolled: 1-line block ×8, first 2 shown]
	s_waitcnt vmcnt(1)
	v_fma_f32 v28, v12, v48, -v1
	v_fmac_f32_e32 v29, v13, v48
	v_fma_f32 v30, v14, v49, -v2
	v_fmac_f32_e32 v31, v15, v49
	;; [unrolled: 2-line block ×4, first 2 shown]
	s_waitcnt vmcnt(0)
	v_fma_f32 v36, v20, v52, -v5
	v_fmac_f32_e32 v37, v21, v52
	v_fma_f32 v38, v22, v53, -v6
	v_fmac_f32_e32 v39, v23, v53
	;; [unrolled: 2-line block ×4, first 2 shown]
	v_pk_mov_b32 v[12:13], v[28:29], v[28:29] op_sel:[0,1]
	v_pk_mov_b32 v[14:15], v[30:31], v[30:31] op_sel:[0,1]
	;; [unrolled: 1-line block ×8, first 2 shown]
	s_or_b64 exec, exec, s[16:17]
	s_and_saveexec_b64 s[2:3], vcc
	s_xor_b64 s[12:13], exec, s[2:3]
	s_cbranch_execnz .LBB5_19
.LBB5_16:
	s_andn2_saveexec_b64 s[0:1], s[12:13]
	s_cbranch_execnz .LBB5_353
.LBB5_17:
	s_or_b64 exec, exec, s[0:1]
                                        ; implicit-def: $vgpr10
                                        ; implicit-def: $vgpr44
                                        ; implicit-def: $vgpr46
	s_andn2_saveexec_b64 s[0:1], s[4:5]
	s_cbranch_execnz .LBB5_9
	s_branch .LBB5_10
.LBB5_18:
	s_or_b64 exec, exec, s[16:17]
	s_and_saveexec_b64 s[2:3], vcc
	s_waitcnt lgkmcnt(0)
	s_xor_b64 s[12:13], exec, s[2:3]
	s_cbranch_execz .LBB5_16
.LBB5_19:
	v_lshlrev_b64 v[2:3], 3, v[10:11]
	v_mov_b32_e32 v1, s11
	v_add_co_u32_e32 v2, vcc, s10, v2
	v_addc_co_u32_e32 v3, vcc, v1, v3, vcc
	global_load_dwordx2 v[30:31], v[2:3], off
	s_waitcnt vmcnt(0)
	v_cmp_lt_i64_e32 vcc, -1, v[30:31]
	s_and_saveexec_b64 s[10:11], vcc
                                        ; implicit-def: $vgpr11
	s_cbranch_execz .LBB5_352
; %bb.20:
	s_ashr_i32 s22, s20, 31
	v_or_b32_e32 v3, s22, v31
	v_mov_b32_e32 v2, 0
	v_cmp_ne_u64_e32 vcc, 0, v[2:3]
                                        ; implicit-def: $vgpr32_vgpr33
	s_and_saveexec_b64 s[2:3], vcc
	s_xor_b64 s[14:15], exec, s[2:3]
	s_cbranch_execz .LBB5_22
; %bb.21:
	s_add_u32 s2, s20, s22
	s_mov_b32 s16, s22
	s_mov_b32 s17, s22
	s_addc_u32 s3, s22, s22
	s_xor_b64 s[18:19], s[2:3], s[16:17]
	v_cvt_f32_u32_e32 v1, s18
	v_cvt_f32_u32_e32 v2, s19
	s_sub_u32 s2, 0, s18
	s_subb_u32 s3, 0, s19
	v_madmk_f32 v1, v2, 0x4f800000, v1
	v_rcp_f32_e32 v1, v1
	v_mul_f32_e32 v1, 0x5f7ffffc, v1
	v_mul_f32_e32 v2, 0x2f800000, v1
	v_trunc_f32_e32 v2, v2
	v_madmk_f32 v1, v2, 0xcf800000, v1
	v_cvt_u32_f32_e32 v2, v2
	v_cvt_u32_f32_e32 v1, v1
	v_mul_lo_u32 v3, s2, v2
	v_mul_hi_u32 v5, s2, v1
	v_mul_lo_u32 v4, s3, v1
	v_add_u32_e32 v3, v5, v3
	v_mul_lo_u32 v6, s2, v1
	v_add_u32_e32 v3, v3, v4
	v_mul_lo_u32 v5, v1, v3
	v_mul_hi_u32 v7, v1, v6
	v_mul_hi_u32 v4, v1, v3
	v_add_co_u32_e32 v5, vcc, v7, v5
	v_addc_co_u32_e32 v4, vcc, 0, v4, vcc
	v_mul_hi_u32 v8, v2, v6
	v_mul_lo_u32 v6, v2, v6
	v_add_co_u32_e32 v5, vcc, v5, v6
	v_mul_hi_u32 v7, v2, v3
	v_addc_co_u32_e32 v4, vcc, v4, v8, vcc
	v_addc_co_u32_e32 v5, vcc, 0, v7, vcc
	v_mul_lo_u32 v3, v2, v3
	v_add_co_u32_e32 v3, vcc, v4, v3
	v_addc_co_u32_e32 v4, vcc, 0, v5, vcc
	v_add_co_u32_e32 v1, vcc, v1, v3
	v_addc_co_u32_e32 v2, vcc, v2, v4, vcc
	v_mul_lo_u32 v3, s2, v2
	v_mul_hi_u32 v4, s2, v1
	v_add_u32_e32 v3, v4, v3
	v_mul_lo_u32 v4, s3, v1
	v_add_u32_e32 v3, v3, v4
	v_mul_lo_u32 v5, s2, v1
	v_mul_hi_u32 v6, v2, v5
	v_mul_lo_u32 v7, v2, v5
	v_mul_lo_u32 v9, v1, v3
	v_mul_hi_u32 v5, v1, v5
	v_mul_hi_u32 v8, v1, v3
	v_add_co_u32_e32 v5, vcc, v5, v9
	v_addc_co_u32_e32 v8, vcc, 0, v8, vcc
	v_add_co_u32_e32 v5, vcc, v5, v7
	v_mul_hi_u32 v4, v2, v3
	v_addc_co_u32_e32 v5, vcc, v8, v6, vcc
	v_addc_co_u32_e32 v4, vcc, 0, v4, vcc
	v_mul_lo_u32 v3, v2, v3
	v_add_co_u32_e32 v3, vcc, v5, v3
	v_addc_co_u32_e32 v4, vcc, 0, v4, vcc
	v_add_co_u32_e32 v1, vcc, v1, v3
	v_addc_co_u32_e32 v4, vcc, v2, v4, vcc
	v_ashrrev_i32_e32 v6, 31, v31
	v_add_co_u32_e32 v2, vcc, v30, v6
	v_addc_co_u32_e32 v3, vcc, v31, v6, vcc
	v_xor_b32_e32 v8, v2, v6
	v_xor_b32_e32 v7, v3, v6
	v_mad_u64_u32 v[2:3], s[2:3], v8, v4, 0
	v_mul_hi_u32 v5, v8, v1
	v_add_co_u32_e32 v9, vcc, v5, v2
	v_addc_co_u32_e32 v10, vcc, 0, v3, vcc
	v_mad_u64_u32 v[2:3], s[2:3], v7, v4, 0
	v_mad_u64_u32 v[4:5], s[2:3], v7, v1, 0
	v_add_co_u32_e32 v1, vcc, v9, v4
	v_addc_co_u32_e32 v1, vcc, v10, v5, vcc
	v_addc_co_u32_e32 v3, vcc, 0, v3, vcc
	v_add_co_u32_e32 v1, vcc, v1, v2
	v_addc_co_u32_e32 v4, vcc, 0, v3, vcc
	v_mul_lo_u32 v5, s19, v1
	v_mul_lo_u32 v9, s18, v4
	v_mad_u64_u32 v[2:3], s[2:3], s18, v1, 0
	v_add3_u32 v3, v3, v9, v5
	v_sub_u32_e32 v5, v7, v3
	v_mov_b32_e32 v9, s19
	v_sub_co_u32_e32 v2, vcc, v8, v2
	v_subb_co_u32_e64 v5, s[2:3], v5, v9, vcc
	v_subrev_co_u32_e64 v8, s[2:3], s18, v2
	v_subbrev_co_u32_e64 v5, s[2:3], 0, v5, s[2:3]
	v_cmp_le_u32_e64 s[2:3], s19, v5
	v_cndmask_b32_e64 v9, 0, -1, s[2:3]
	v_cmp_le_u32_e64 s[2:3], s18, v8
	v_cndmask_b32_e64 v8, 0, -1, s[2:3]
	v_cmp_eq_u32_e64 s[2:3], s19, v5
	v_cndmask_b32_e64 v5, v9, v8, s[2:3]
	v_add_co_u32_e64 v8, s[2:3], 2, v1
	v_subb_co_u32_e32 v3, vcc, v7, v3, vcc
	v_addc_co_u32_e64 v9, s[2:3], 0, v4, s[2:3]
	v_cmp_le_u32_e32 vcc, s19, v3
	v_add_co_u32_e64 v10, s[2:3], 1, v1
	v_cndmask_b32_e64 v7, 0, -1, vcc
	v_cmp_le_u32_e32 vcc, s18, v2
	v_addc_co_u32_e64 v11, s[2:3], 0, v4, s[2:3]
	v_cndmask_b32_e64 v2, 0, -1, vcc
	v_cmp_eq_u32_e32 vcc, s19, v3
	v_cmp_ne_u32_e64 s[2:3], 0, v5
	v_cndmask_b32_e32 v2, v7, v2, vcc
	v_cndmask_b32_e64 v5, v11, v9, s[2:3]
	v_cmp_ne_u32_e32 vcc, 0, v2
	v_cndmask_b32_e64 v3, v10, v8, s[2:3]
	v_cndmask_b32_e32 v2, v4, v5, vcc
	v_cndmask_b32_e32 v1, v1, v3, vcc
	v_xor_b32_e32 v4, s16, v6
	v_xor_b32_e32 v3, s17, v6
	;; [unrolled: 1-line block ×4, first 2 shown]
	v_sub_co_u32_e32 v32, vcc, v1, v4
	v_subb_co_u32_e32 v33, vcc, v2, v3, vcc
.LBB5_22:
	s_andn2_saveexec_b64 s[2:3], s[14:15]
	s_cbranch_execz .LBB5_24
; %bb.23:
	v_cvt_f32_u32_e32 v1, s20
	s_sub_i32 s14, 0, s20
	v_mov_b32_e32 v33, 0
	v_rcp_iflag_f32_e32 v1, v1
	v_mul_f32_e32 v1, 0x4f7ffffe, v1
	v_cvt_u32_f32_e32 v1, v1
	v_mul_lo_u32 v2, s14, v1
	v_mul_hi_u32 v2, v1, v2
	v_add_u32_e32 v1, v1, v2
	v_mul_hi_u32 v1, v30, v1
	v_mul_lo_u32 v2, v1, s20
	v_sub_u32_e32 v2, v30, v2
	v_add_u32_e32 v3, 1, v1
	v_subrev_u32_e32 v4, s20, v2
	v_cmp_le_u32_e32 vcc, s20, v2
	v_cndmask_b32_e32 v2, v2, v4, vcc
	v_cndmask_b32_e32 v1, v1, v3, vcc
	v_add_u32_e32 v3, 1, v1
	v_cmp_le_u32_e32 vcc, s20, v2
	v_cndmask_b32_e32 v32, v1, v3, vcc
.LBB5_24:
	s_or_b64 exec, exec, s[2:3]
	s_mov_b32 s2, 0x7f800000
	v_and_b32_e32 v1, 0x7f800000, v12
	v_cmp_ne_u32_e32 vcc, s2, v1
                                        ; implicit-def: $vgpr29
	s_and_saveexec_b64 s[2:3], vcc
	s_xor_b64 s[2:3], exec, s[2:3]
; %bb.25:
	v_bfe_u32 v1, v12, 16, 1
	s_movk_i32 s14, 0x7fff
	v_add3_u32 v29, v12, v1, s14
; %bb.26:
	s_andn2_saveexec_b64 s[2:3], s[2:3]
; %bb.27:
	v_mov_b32_e32 v1, 0
	v_or_b32_e32 v2, 0x10000, v12
	v_cmp_eq_u32_sdwa vcc, v12, v1 src0_sel:WORD_0 src1_sel:DWORD
	v_cndmask_b32_e32 v29, v2, v12, vcc
; %bb.28:
	s_or_b64 exec, exec, s[2:3]
	s_mov_b32 s2, 0x7f800000
	v_and_b32_e32 v1, 0x7f800000, v13
	v_and_b32_e32 v28, 0xffff0000, v29
	v_cmp_ne_u32_e32 vcc, s2, v1
                                        ; implicit-def: $vgpr34
	s_and_saveexec_b64 s[2:3], vcc
	s_xor_b64 s[2:3], exec, s[2:3]
; %bb.29:
	v_bfe_u32 v1, v13, 16, 1
	s_movk_i32 s14, 0x7fff
	v_add3_u32 v34, v13, v1, s14
; %bb.30:
	s_andn2_saveexec_b64 s[2:3], s[2:3]
; %bb.31:
	v_mov_b32_e32 v1, 0
	v_or_b32_e32 v2, 0x10000, v13
	v_cmp_eq_u32_sdwa vcc, v13, v1 src0_sel:WORD_0 src1_sel:DWORD
	v_cndmask_b32_e32 v34, v2, v13, vcc
; %bb.32:
	s_or_b64 exec, exec, s[2:3]
	s_mov_b32 s2, 0x7f800000
	v_and_b32_e32 v2, 0x7f800000, v14
	v_and_b32_e32 v1, 0xffff0000, v34
	v_cmp_ne_u32_e32 vcc, s2, v2
                                        ; implicit-def: $vgpr35
	s_and_saveexec_b64 s[2:3], vcc
	s_xor_b64 s[2:3], exec, s[2:3]
; %bb.33:
	v_bfe_u32 v2, v14, 16, 1
	s_movk_i32 s14, 0x7fff
	v_add3_u32 v35, v14, v2, s14
; %bb.34:
	s_andn2_saveexec_b64 s[2:3], s[2:3]
; %bb.35:
	v_mov_b32_e32 v2, 0
	v_or_b32_e32 v3, 0x10000, v14
	v_cmp_eq_u32_sdwa vcc, v14, v2 src0_sel:WORD_0 src1_sel:DWORD
	v_cndmask_b32_e32 v35, v3, v14, vcc
; %bb.36:
	s_or_b64 exec, exec, s[2:3]
	s_mov_b32 s2, 0x7f800000
	v_and_b32_e32 v3, 0x7f800000, v15
	v_and_b32_e32 v2, 0xffff0000, v35
	v_cmp_ne_u32_e32 vcc, s2, v3
                                        ; implicit-def: $vgpr36
	s_and_saveexec_b64 s[2:3], vcc
	s_xor_b64 s[2:3], exec, s[2:3]
; %bb.37:
	v_bfe_u32 v3, v15, 16, 1
	s_movk_i32 s14, 0x7fff
	v_add3_u32 v36, v15, v3, s14
; %bb.38:
	s_andn2_saveexec_b64 s[2:3], s[2:3]
; %bb.39:
	v_mov_b32_e32 v3, 0
	v_or_b32_e32 v4, 0x10000, v15
	v_cmp_eq_u32_sdwa vcc, v15, v3 src0_sel:WORD_0 src1_sel:DWORD
	v_cndmask_b32_e32 v36, v4, v15, vcc
; %bb.40:
	s_or_b64 exec, exec, s[2:3]
	s_mov_b32 s2, 0x7f800000
	v_and_b32_e32 v4, 0x7f800000, v16
	v_and_b32_e32 v3, 0xffff0000, v36
	v_cmp_ne_u32_e32 vcc, s2, v4
                                        ; implicit-def: $vgpr37
	s_and_saveexec_b64 s[2:3], vcc
	s_xor_b64 s[2:3], exec, s[2:3]
; %bb.41:
	v_bfe_u32 v4, v16, 16, 1
	s_movk_i32 s14, 0x7fff
	v_add3_u32 v37, v16, v4, s14
; %bb.42:
	s_andn2_saveexec_b64 s[2:3], s[2:3]
; %bb.43:
	v_mov_b32_e32 v4, 0
	v_or_b32_e32 v5, 0x10000, v16
	v_cmp_eq_u32_sdwa vcc, v16, v4 src0_sel:WORD_0 src1_sel:DWORD
	v_cndmask_b32_e32 v37, v5, v16, vcc
; %bb.44:
	s_or_b64 exec, exec, s[2:3]
	s_mov_b32 s2, 0x7f800000
	v_and_b32_e32 v5, 0x7f800000, v17
	v_and_b32_e32 v4, 0xffff0000, v37
	v_cmp_ne_u32_e32 vcc, s2, v5
                                        ; implicit-def: $vgpr38
	s_and_saveexec_b64 s[2:3], vcc
	s_xor_b64 s[2:3], exec, s[2:3]
; %bb.45:
	v_bfe_u32 v5, v17, 16, 1
	s_movk_i32 s14, 0x7fff
	v_add3_u32 v38, v17, v5, s14
; %bb.46:
	s_andn2_saveexec_b64 s[2:3], s[2:3]
; %bb.47:
	v_mov_b32_e32 v5, 0
	v_or_b32_e32 v6, 0x10000, v17
	v_cmp_eq_u32_sdwa vcc, v17, v5 src0_sel:WORD_0 src1_sel:DWORD
	v_cndmask_b32_e32 v38, v6, v17, vcc
; %bb.48:
	s_or_b64 exec, exec, s[2:3]
	s_mov_b32 s2, 0x7f800000
	v_and_b32_e32 v6, 0x7f800000, v18
	v_and_b32_e32 v5, 0xffff0000, v38
	v_cmp_ne_u32_e32 vcc, s2, v6
                                        ; implicit-def: $vgpr39
	s_and_saveexec_b64 s[2:3], vcc
	s_xor_b64 s[2:3], exec, s[2:3]
; %bb.49:
	v_bfe_u32 v6, v18, 16, 1
	s_movk_i32 s14, 0x7fff
	v_add3_u32 v39, v18, v6, s14
; %bb.50:
	s_andn2_saveexec_b64 s[2:3], s[2:3]
; %bb.51:
	v_mov_b32_e32 v6, 0
	v_or_b32_e32 v7, 0x10000, v18
	v_cmp_eq_u32_sdwa vcc, v18, v6 src0_sel:WORD_0 src1_sel:DWORD
	v_cndmask_b32_e32 v39, v7, v18, vcc
; %bb.52:
	s_or_b64 exec, exec, s[2:3]
	s_mov_b32 s2, 0x7f800000
	v_and_b32_e32 v7, 0x7f800000, v19
	v_and_b32_e32 v6, 0xffff0000, v39
	v_cmp_ne_u32_e32 vcc, s2, v7
                                        ; implicit-def: $vgpr40
	s_and_saveexec_b64 s[2:3], vcc
	s_xor_b64 s[2:3], exec, s[2:3]
; %bb.53:
	v_bfe_u32 v7, v19, 16, 1
	s_movk_i32 s14, 0x7fff
	v_add3_u32 v40, v19, v7, s14
; %bb.54:
	s_andn2_saveexec_b64 s[2:3], s[2:3]
; %bb.55:
	v_mov_b32_e32 v7, 0
	v_or_b32_e32 v8, 0x10000, v19
	v_cmp_eq_u32_sdwa vcc, v19, v7 src0_sel:WORD_0 src1_sel:DWORD
	v_cndmask_b32_e32 v40, v8, v19, vcc
; %bb.56:
	s_or_b64 exec, exec, s[2:3]
	s_mov_b32 s2, 0x7f800000
	v_and_b32_e32 v8, 0x7f800000, v20
	v_and_b32_e32 v7, 0xffff0000, v40
	v_cmp_ne_u32_e32 vcc, s2, v8
                                        ; implicit-def: $vgpr41
	s_and_saveexec_b64 s[2:3], vcc
	s_xor_b64 s[2:3], exec, s[2:3]
; %bb.57:
	v_bfe_u32 v8, v20, 16, 1
	s_movk_i32 s14, 0x7fff
	v_add3_u32 v41, v20, v8, s14
; %bb.58:
	s_andn2_saveexec_b64 s[2:3], s[2:3]
; %bb.59:
	v_mov_b32_e32 v8, 0
	v_or_b32_e32 v9, 0x10000, v20
	v_cmp_eq_u32_sdwa vcc, v20, v8 src0_sel:WORD_0 src1_sel:DWORD
	v_cndmask_b32_e32 v41, v9, v20, vcc
; %bb.60:
	s_or_b64 exec, exec, s[2:3]
	s_mov_b32 s2, 0x7f800000
	v_and_b32_e32 v9, 0x7f800000, v21
	v_and_b32_e32 v8, 0xffff0000, v41
	v_cmp_ne_u32_e32 vcc, s2, v9
                                        ; implicit-def: $vgpr42
	s_and_saveexec_b64 s[2:3], vcc
	s_xor_b64 s[2:3], exec, s[2:3]
; %bb.61:
	v_bfe_u32 v9, v21, 16, 1
	s_movk_i32 s14, 0x7fff
	v_add3_u32 v42, v21, v9, s14
; %bb.62:
	s_andn2_saveexec_b64 s[2:3], s[2:3]
; %bb.63:
	v_mov_b32_e32 v9, 0
	v_or_b32_e32 v10, 0x10000, v21
	v_cmp_eq_u32_sdwa vcc, v21, v9 src0_sel:WORD_0 src1_sel:DWORD
	v_cndmask_b32_e32 v42, v10, v21, vcc
; %bb.64:
	s_or_b64 exec, exec, s[2:3]
	s_mov_b32 s2, 0x7f800000
	v_and_b32_e32 v10, 0x7f800000, v22
	v_and_b32_e32 v9, 0xffff0000, v42
	v_cmp_ne_u32_e32 vcc, s2, v10
                                        ; implicit-def: $vgpr43
	s_and_saveexec_b64 s[2:3], vcc
	s_xor_b64 s[2:3], exec, s[2:3]
; %bb.65:
	v_bfe_u32 v10, v22, 16, 1
	s_movk_i32 s14, 0x7fff
	v_add3_u32 v43, v22, v10, s14
; %bb.66:
	s_andn2_saveexec_b64 s[2:3], s[2:3]
; %bb.67:
	v_mov_b32_e32 v10, 0
	v_or_b32_e32 v11, 0x10000, v22
	v_cmp_eq_u32_sdwa vcc, v22, v10 src0_sel:WORD_0 src1_sel:DWORD
	v_cndmask_b32_e32 v43, v11, v22, vcc
; %bb.68:
	s_or_b64 exec, exec, s[2:3]
	s_mov_b32 s2, 0x7f800000
	v_and_b32_e32 v11, 0x7f800000, v23
	v_and_b32_e32 v10, 0xffff0000, v43
	v_cmp_ne_u32_e32 vcc, s2, v11
                                        ; implicit-def: $vgpr44
	s_and_saveexec_b64 s[2:3], vcc
	s_xor_b64 s[2:3], exec, s[2:3]
; %bb.69:
	v_bfe_u32 v11, v23, 16, 1
	s_movk_i32 s14, 0x7fff
	v_add3_u32 v44, v23, v11, s14
; %bb.70:
	s_andn2_saveexec_b64 s[2:3], s[2:3]
; %bb.71:
	v_mov_b32_e32 v11, 0
	v_or_b32_e32 v12, 0x10000, v23
	v_cmp_eq_u32_sdwa vcc, v23, v11 src0_sel:WORD_0 src1_sel:DWORD
	v_cndmask_b32_e32 v44, v12, v23, vcc
; %bb.72:
	s_or_b64 exec, exec, s[2:3]
	s_mov_b32 s2, 0x7f800000
	v_and_b32_e32 v12, 0x7f800000, v24
	v_and_b32_e32 v11, 0xffff0000, v44
	v_cmp_ne_u32_e32 vcc, s2, v12
                                        ; implicit-def: $vgpr45
	s_and_saveexec_b64 s[2:3], vcc
	s_xor_b64 s[2:3], exec, s[2:3]
; %bb.73:
	v_bfe_u32 v12, v24, 16, 1
	s_movk_i32 s14, 0x7fff
	v_add3_u32 v45, v24, v12, s14
; %bb.74:
	s_andn2_saveexec_b64 s[2:3], s[2:3]
; %bb.75:
	v_mov_b32_e32 v12, 0
	v_or_b32_e32 v13, 0x10000, v24
	v_cmp_eq_u32_sdwa vcc, v24, v12 src0_sel:WORD_0 src1_sel:DWORD
	v_cndmask_b32_e32 v45, v13, v24, vcc
; %bb.76:
	s_or_b64 exec, exec, s[2:3]
	s_mov_b32 s2, 0x7f800000
	v_and_b32_e32 v12, 0x7f800000, v25
	v_cmp_ne_u32_e32 vcc, s2, v12
                                        ; implicit-def: $vgpr48
	s_and_saveexec_b64 s[2:3], vcc
	s_xor_b64 s[2:3], exec, s[2:3]
; %bb.77:
	v_bfe_u32 v12, v25, 16, 1
	s_movk_i32 s14, 0x7fff
	v_add3_u32 v48, v25, v12, s14
; %bb.78:
	s_andn2_saveexec_b64 s[2:3], s[2:3]
; %bb.79:
	v_mov_b32_e32 v12, 0
	v_or_b32_e32 v13, 0x10000, v25
	v_cmp_eq_u32_sdwa vcc, v25, v12 src0_sel:WORD_0 src1_sel:DWORD
	v_cndmask_b32_e32 v48, v13, v25, vcc
; %bb.80:
	s_or_b64 exec, exec, s[2:3]
	s_mov_b32 s2, 0x7f800000
	v_and_b32_e32 v12, 0x7f800000, v26
	v_cmp_ne_u32_e32 vcc, s2, v12
                                        ; implicit-def: $vgpr49
	s_and_saveexec_b64 s[2:3], vcc
	s_xor_b64 s[2:3], exec, s[2:3]
; %bb.81:
	v_bfe_u32 v12, v26, 16, 1
	s_movk_i32 s14, 0x7fff
	v_add3_u32 v49, v26, v12, s14
; %bb.82:
	s_andn2_saveexec_b64 s[2:3], s[2:3]
; %bb.83:
	v_mov_b32_e32 v12, 0
	v_or_b32_e32 v13, 0x10000, v26
	v_cmp_eq_u32_sdwa vcc, v26, v12 src0_sel:WORD_0 src1_sel:DWORD
	v_cndmask_b32_e32 v49, v13, v26, vcc
; %bb.84:
	s_or_b64 exec, exec, s[2:3]
	s_mov_b32 s2, 0x7f800000
	v_and_b32_e32 v12, 0x7f800000, v27
	v_cmp_ne_u32_e32 vcc, s2, v12
                                        ; implicit-def: $vgpr50
	s_and_saveexec_b64 s[2:3], vcc
	s_xor_b64 s[2:3], exec, s[2:3]
; %bb.85:
	v_bfe_u32 v12, v27, 16, 1
	s_movk_i32 s14, 0x7fff
	v_add3_u32 v50, v27, v12, s14
                                        ; implicit-def: $vgpr12_vgpr13_vgpr14_vgpr15_vgpr16_vgpr17_vgpr18_vgpr19_vgpr20_vgpr21_vgpr22_vgpr23_vgpr24_vgpr25_vgpr26_vgpr27
; %bb.86:
	s_andn2_saveexec_b64 s[2:3], s[2:3]
; %bb.87:
	v_mov_b32_e32 v12, 0
	v_or_b32_e32 v13, 0x10000, v27
	v_cmp_eq_u32_sdwa vcc, v27, v12 src0_sel:WORD_0 src1_sel:DWORD
	v_cndmask_b32_e32 v50, v13, v27, vcc
; %bb.88:
	s_or_b64 exec, exec, s[2:3]
	v_mul_lo_u32 v14, v33, s20
	v_mul_lo_u32 v15, v32, s22
	v_mad_u64_u32 v[12:13], s[2:3], v32, s20, 0
	v_add3_u32 v13, v13, v15, v14
	v_sub_co_u32_e32 v14, vcc, v30, v12
	v_subb_co_u32_e32 v15, vcc, v31, v13, vcc
	s_ashr_i32 s14, s21, 31
	v_pk_mov_b32 v[12:13], s[8:9], s[8:9] op_sel:[0,1]
	v_mad_u64_u32 v[16:17], s[2:3], v32, s21, v[12:13]
	v_mul_lo_u32 v12, v33, s21
	v_mul_lo_u32 v13, v32, s14
	v_add3_u32 v17, v12, v17, v13
	s_movk_i32 s8, 0x240
	v_mad_u64_u32 v[12:13], s[2:3], v14, s8, v[16:17]
	v_mov_b32_e32 v18, v13
	v_mad_u64_u32 v[18:19], s[2:3], v15, s8, v[18:19]
	v_mov_b32_e32 v13, v18
	v_max3_f32 v18, |v28|, 0, |v1|
	v_max3_f32 v18, v18, |v2|, |v3|
	v_mbcnt_lo_u32_b32 v19, -1, 0
	v_max3_f32 v18, v18, |v4|, |v5|
	v_mbcnt_hi_u32_b32 v19, -1, v19
	v_max3_f32 v18, v18, |v6|, |v7|
	v_and_b32_e32 v20, 64, v19
	v_max3_f32 v18, v18, |v8|, |v9|
	v_add_u32_e32 v20, 64, v20
	v_xor_b32_e32 v21, 1, v19
	v_max3_f32 v18, v18, |v10|, |v11|
	v_and_b32_e32 v26, 0xffff0000, v48
	v_and_b32_e32 v27, 0xffff0000, v45
	v_cmp_lt_i32_e32 vcc, v21, v20
	v_max3_f32 v18, v18, |v27|, |v26|
	v_and_b32_e32 v24, 0xffff0000, v49
	v_and_b32_e32 v22, 0xffff0000, v50
	v_cndmask_b32_e32 v21, v19, v21, vcc
	v_max3_f32 v18, v18, |v24|, |v22|
	v_lshlrev_b32_e32 v21, 2, v21
	ds_bpermute_b32 v21, v21, v18
	s_waitcnt lgkmcnt(0)
	v_max_f32_e32 v21, v21, v21
	v_max_f32_e32 v18, v18, v21
	v_xor_b32_e32 v21, 2, v19
	v_cmp_lt_i32_e32 vcc, v21, v20
	v_cndmask_b32_e32 v19, v19, v21, vcc
	v_lshlrev_b32_e32 v19, 2, v19
	ds_bpermute_b32 v19, v19, v18
	s_and_saveexec_b64 s[2:3], s[0:1]
	s_xor_b64 s[2:3], exec, s[2:3]
	s_cbranch_execz .LBB5_350
; %bb.89:
	s_mov_b32 s0, 0x38d1b717
	s_waitcnt lgkmcnt(0)
	v_max3_f32 v18, v18, v19, s0
	s_mov_b32 s8, 0x43e00000
	v_div_scale_f32 v19, s[0:1], s8, s8, v18
	v_rcp_f32_e32 v20, v19
	s_mov_b32 s0, 0x800000
	v_fma_f32 v21, -v19, v20, 1.0
	v_fmac_f32_e32 v20, v21, v20
	v_div_scale_f32 v21, vcc, v18, s8, v18
	v_mul_f32_e32 v23, v21, v20
	v_fma_f32 v25, -v19, v23, v21
	v_fmac_f32_e32 v23, v25, v20
	v_fma_f32 v19, -v19, v23, v21
	v_div_fmas_f32 v19, v19, v20, v23
	v_div_fixup_f32 v18, v19, s8, v18
	v_mov_b32_e32 v19, 0x4f800000
	v_cmp_gt_f32_e32 vcc, s0, v18
	v_cndmask_b32_e32 v19, 1.0, v19, vcc
	v_mul_f32_e32 v18, v18, v19
	v_log_f32_e32 v18, v18
	v_mov_b32_e32 v19, 0x42000000
	v_cndmask_b32_e32 v19, 0, v19, vcc
	s_mov_b32 s0, 0x42fc0000
	v_sub_f32_e32 v18, v18, v19
	v_ceil_f32_e32 v20, v18
	v_mov_b32_e32 v18, 0x42800000
	v_cmp_lt_f32_e32 vcc, s0, v20
	v_cndmask_b32_e32 v18, 0, v18, vcc
	v_sub_f32_e32 v18, v18, v20
	v_exp_f32_e32 v18, v18
	v_mov_b32_e32 v19, 0x1f800000
	v_cndmask_b32_e32 v19, 1.0, v19, vcc
	s_movk_i32 s0, 0x80
	v_mul_f32_e32 v23, v18, v19
	v_mul_f32_e32 v18, v23, v28
	v_max_f32_e32 v18, 0xc3e00000, v18
	v_min_f32_e32 v28, 0x43e00000, v18
	v_mov_b32_e32 v19, 0
	v_and_b32_sdwa v25, v28, s0 dst_sel:DWORD dst_unused:UNUSED_PAD src0_sel:BYTE_3 src1_sel:DWORD
	v_and_b32_e32 v30, 0x7f800000, v28
	v_mov_b32_e32 v31, v19
	s_mov_b64 s[0:1], 0x7f800000
	v_and_b32_e32 v18, 0x7fffff, v28
	v_or_b32_e32 v21, 0x7e, v25
	v_cmp_ne_u64_e32 vcc, s[0:1], v[30:31]
	s_and_saveexec_b64 s[0:1], vcc
	s_xor_b64 s[8:9], exec, s[0:1]
	s_cbranch_execz .LBB5_103
; %bb.90:
	v_and_b32_e32 v30, 0x7fffffff, v28
	v_mov_b32_e32 v31, v19
	s_mov_b64 s[0:1], 0x43e00001
	v_cmp_gt_u64_e32 vcc, s[0:1], v[30:31]
	s_and_saveexec_b64 s[0:1], vcc
	s_xor_b64 s[14:15], exec, s[0:1]
	s_cbranch_execz .LBB5_102
; %bb.91:
	v_cmp_ne_u32_e32 vcc, 0, v28
	v_mov_b32_e32 v21, 0
	s_and_saveexec_b64 s[16:17], vcc
	s_cbranch_execz .LBB5_101
; %bb.92:
	v_bfe_u32 v21, v28, 23, 8
	s_movk_i32 s0, 0x7a
	v_sub_u32_e32 v29, 0x79, v21
	v_cmp_gt_u32_e32 vcc, s0, v21
	v_add_u32_e32 v28, 0xffffff81, v21
	v_cndmask_b32_e32 v29, 0, v29, vcc
	v_mov_b32_e32 v31, 0xffffff82
	v_cmp_eq_u32_e32 vcc, 0, v21
	v_cndmask_b32_e32 v21, v28, v31, vcc
	v_mov_b32_e32 v28, 0x78
	v_cndmask_b32_e32 v34, v29, v28, vcc
	v_add_u32_e32 v28, 20, v34
	v_or_b32_e32 v30, 0x800000, v18
	v_lshlrev_b64 v[28:29], v28, -1
	v_cndmask_b32_e32 v18, v30, v18, vcc
	v_not_b32_e32 v28, v28
	v_and_b32_e32 v30, v18, v28
	v_add_u32_e32 v28, 19, v34
	v_lshrrev_b64 v[18:19], v34, v[18:19]
	v_not_b32_e32 v29, v29
	v_lshlrev_b64 v[32:33], v28, 1
	v_lshrrev_b32_e32 v28, 23, v18
	v_and_b32_e32 v31, 0, v29
	v_add3_u32 v29, v34, v21, v28
	v_bfe_u32 v28, v18, 20, 1
	v_add_u32_e32 v28, -1, v28
	v_cmp_eq_u64_e32 vcc, v[30:31], v[32:33]
	v_cndmask_b32_e32 v28, 0, v28, vcc
	v_add_u32_e32 v28, v28, v18
	v_and_b32_e32 v28, 0xfffff, v28
	v_add_co_u32_e32 v18, vcc, v28, v18
	v_add_u32_e32 v21, 6, v29
	v_addc_co_u32_e32 v19, vcc, 0, v19, vcc
	v_cmp_ne_u32_e32 vcc, 0, v21
                                        ; implicit-def: $vgpr28
	s_and_saveexec_b64 s[0:1], vcc
	s_xor_b64 s[0:1], exec, s[0:1]
; %bb.93:
	s_mov_b64 s[18:19], 0xffffff
	v_add_u32_e32 v28, 7, v29
	v_cmp_lt_u64_e32 vcc, s[18:19], v[18:19]
	v_cndmask_b32_e32 v28, v21, v28, vcc
	v_cndmask_b32_e64 v21, 0, 1, vcc
	v_lshrrev_b64 v[18:19], v21, v[18:19]
; %bb.94:
	s_andn2_saveexec_b64 s[0:1], s[0:1]
; %bb.95:
	v_bfe_u32 v28, v18, 23, 1
; %bb.96:
	s_or_b64 exec, exec, s[0:1]
	v_lshrrev_b64 v[18:19], 20, v[18:19]
	v_cmp_gt_i32_e32 vcc, 16, v28
	v_cndmask_b32_e32 v19, 0, v19, vcc
	v_cndmask_b32_e32 v18, 7, v18, vcc
	v_cmp_ne_u32_e32 vcc, 0, v28
	v_cmp_ne_u64_e64 s[0:1], 0, v[18:19]
	s_or_b64 s[0:1], vcc, s[0:1]
                                        ; implicit-def: $vgpr21
	s_and_saveexec_b64 s[18:19], s[0:1]
	s_xor_b64 s[0:1], exec, s[18:19]
; %bb.97:
	v_min_i32_e32 v19, 15, v28
	v_lshl_or_b32 v19, v19, 3, v25
	v_and_or_b32 v21, v18, 7, v19
                                        ; implicit-def: $vgpr25
; %bb.98:
	s_andn2_saveexec_b64 s[0:1], s[0:1]
; %bb.99:
	v_mov_b32_e32 v21, v25
; %bb.100:
	s_or_b64 exec, exec, s[0:1]
.LBB5_101:
	s_or_b64 exec, exec, s[16:17]
.LBB5_102:
	s_andn2_saveexec_b64 s[0:1], s[14:15]
	s_or_b64 exec, exec, s[0:1]
                                        ; implicit-def: $vgpr28
                                        ; implicit-def: $vgpr18_vgpr19
.LBB5_103:
	s_andn2_saveexec_b64 s[0:1], s[8:9]
; %bb.104:
	s_movk_i32 s8, 0x7f
	v_or_b32_sdwa v25, v28, s8 dst_sel:DWORD dst_unused:UNUSED_PAD src0_sel:BYTE_3 src1_sel:DWORD
	v_cmp_eq_u64_e32 vcc, 0, v[18:19]
	v_cndmask_b32_e32 v21, v25, v21, vcc
; %bb.105:
	s_or_b64 exec, exec, s[0:1]
	v_mul_f32_e32 v1, v23, v1
	v_max_f32_e32 v1, 0xc3e00000, v1
	v_min_f32_e32 v28, 0x43e00000, v1
	v_mov_b32_e32 v19, 0
	s_movk_i32 s0, 0x80
	v_and_b32_sdwa v25, v28, s0 dst_sel:DWORD dst_unused:UNUSED_PAD src0_sel:BYTE_3 src1_sel:DWORD
	v_and_b32_e32 v30, 0x7f800000, v28
	v_mov_b32_e32 v31, v19
	s_mov_b64 s[0:1], 0x7f800000
	v_and_b32_e32 v18, 0x7fffff, v28
	v_or_b32_e32 v1, 0x7e, v25
	v_cmp_ne_u64_e32 vcc, s[0:1], v[30:31]
	s_and_saveexec_b64 s[0:1], vcc
	s_xor_b64 s[8:9], exec, s[0:1]
	s_cbranch_execz .LBB5_119
; %bb.106:
	v_and_b32_e32 v30, 0x7fffffff, v28
	v_mov_b32_e32 v31, v19
	s_mov_b64 s[0:1], 0x43e00001
	v_cmp_gt_u64_e32 vcc, s[0:1], v[30:31]
	s_and_saveexec_b64 s[0:1], vcc
	s_xor_b64 s[14:15], exec, s[0:1]
	s_cbranch_execz .LBB5_118
; %bb.107:
	v_cmp_ne_u32_e32 vcc, 0, v28
	v_mov_b32_e32 v1, 0
	s_and_saveexec_b64 s[16:17], vcc
	s_cbranch_execz .LBB5_117
; %bb.108:
	v_bfe_u32 v1, v28, 23, 8
	s_movk_i32 s0, 0x7a
	v_sub_u32_e32 v29, 0x79, v1
	v_cmp_gt_u32_e32 vcc, s0, v1
	v_add_u32_e32 v28, 0xffffff81, v1
	v_cndmask_b32_e32 v29, 0, v29, vcc
	v_mov_b32_e32 v31, 0xffffff82
	v_cmp_eq_u32_e32 vcc, 0, v1
	v_cndmask_b32_e32 v1, v28, v31, vcc
	v_mov_b32_e32 v28, 0x78
	v_cndmask_b32_e32 v34, v29, v28, vcc
	v_add_u32_e32 v28, 20, v34
	v_or_b32_e32 v30, 0x800000, v18
	v_lshlrev_b64 v[28:29], v28, -1
	v_cndmask_b32_e32 v18, v30, v18, vcc
	v_not_b32_e32 v28, v28
	v_and_b32_e32 v30, v18, v28
	v_add_u32_e32 v28, 19, v34
	v_lshrrev_b64 v[18:19], v34, v[18:19]
	v_not_b32_e32 v29, v29
	v_lshlrev_b64 v[32:33], v28, 1
	v_lshrrev_b32_e32 v28, 23, v18
	v_and_b32_e32 v31, 0, v29
	v_add3_u32 v29, v34, v1, v28
	v_bfe_u32 v28, v18, 20, 1
	v_add_u32_e32 v28, -1, v28
	v_cmp_eq_u64_e32 vcc, v[30:31], v[32:33]
	v_cndmask_b32_e32 v28, 0, v28, vcc
	v_add_u32_e32 v28, v28, v18
	v_and_b32_e32 v28, 0xfffff, v28
	v_add_co_u32_e32 v18, vcc, v28, v18
	v_add_u32_e32 v1, 6, v29
	v_addc_co_u32_e32 v19, vcc, 0, v19, vcc
	v_cmp_ne_u32_e32 vcc, 0, v1
                                        ; implicit-def: $vgpr28
	s_and_saveexec_b64 s[0:1], vcc
	s_xor_b64 s[0:1], exec, s[0:1]
; %bb.109:
	s_mov_b64 s[18:19], 0xffffff
	v_add_u32_e32 v28, 7, v29
	v_cmp_lt_u64_e32 vcc, s[18:19], v[18:19]
	v_cndmask_b32_e32 v28, v1, v28, vcc
	v_cndmask_b32_e64 v1, 0, 1, vcc
	v_lshrrev_b64 v[18:19], v1, v[18:19]
; %bb.110:
	s_andn2_saveexec_b64 s[0:1], s[0:1]
; %bb.111:
	v_bfe_u32 v28, v18, 23, 1
; %bb.112:
	s_or_b64 exec, exec, s[0:1]
	v_lshrrev_b64 v[18:19], 20, v[18:19]
	v_cmp_gt_i32_e32 vcc, 16, v28
	v_cndmask_b32_e32 v19, 0, v19, vcc
	v_cndmask_b32_e32 v18, 7, v18, vcc
	v_cmp_ne_u32_e32 vcc, 0, v28
	v_cmp_ne_u64_e64 s[0:1], 0, v[18:19]
	s_or_b64 s[0:1], vcc, s[0:1]
                                        ; implicit-def: $vgpr1
	s_and_saveexec_b64 s[18:19], s[0:1]
	s_xor_b64 s[0:1], exec, s[18:19]
; %bb.113:
	v_min_i32_e32 v1, 15, v28
	v_lshl_or_b32 v1, v1, 3, v25
	v_and_or_b32 v1, v18, 7, v1
                                        ; implicit-def: $vgpr25
; %bb.114:
	s_andn2_saveexec_b64 s[0:1], s[0:1]
; %bb.115:
	v_mov_b32_e32 v1, v25
; %bb.116:
	s_or_b64 exec, exec, s[0:1]
.LBB5_117:
	s_or_b64 exec, exec, s[16:17]
.LBB5_118:
	s_andn2_saveexec_b64 s[0:1], s[14:15]
	s_or_b64 exec, exec, s[0:1]
                                        ; implicit-def: $vgpr28
                                        ; implicit-def: $vgpr18_vgpr19
.LBB5_119:
	s_andn2_saveexec_b64 s[0:1], s[8:9]
; %bb.120:
	s_movk_i32 s8, 0x7f
	v_or_b32_sdwa v25, v28, s8 dst_sel:DWORD dst_unused:UNUSED_PAD src0_sel:BYTE_3 src1_sel:DWORD
	v_cmp_eq_u64_e32 vcc, 0, v[18:19]
	v_cndmask_b32_e32 v1, v25, v1, vcc
; %bb.121:
	s_or_b64 exec, exec, s[0:1]
	v_mul_f32_e32 v2, v23, v2
	v_max_f32_e32 v2, 0xc3e00000, v2
	v_min_f32_e32 v28, 0x43e00000, v2
	v_mov_b32_e32 v19, 0
	s_movk_i32 s0, 0x80
	v_and_b32_sdwa v2, v28, s0 dst_sel:DWORD dst_unused:UNUSED_PAD src0_sel:BYTE_3 src1_sel:DWORD
	v_and_b32_e32 v30, 0x7f800000, v28
	v_mov_b32_e32 v31, v19
	s_mov_b64 s[0:1], 0x7f800000
	v_and_b32_e32 v18, 0x7fffff, v28
	v_or_b32_e32 v25, 0x7e, v2
	v_cmp_ne_u64_e32 vcc, s[0:1], v[30:31]
	s_and_saveexec_b64 s[0:1], vcc
	s_xor_b64 s[8:9], exec, s[0:1]
	s_cbranch_execz .LBB5_135
; %bb.122:
	v_and_b32_e32 v30, 0x7fffffff, v28
	v_mov_b32_e32 v31, v19
	s_mov_b64 s[0:1], 0x43e00001
	v_cmp_gt_u64_e32 vcc, s[0:1], v[30:31]
	s_and_saveexec_b64 s[0:1], vcc
	s_xor_b64 s[14:15], exec, s[0:1]
	s_cbranch_execz .LBB5_134
; %bb.123:
	v_cmp_ne_u32_e32 vcc, 0, v28
	v_mov_b32_e32 v25, 0
	s_and_saveexec_b64 s[16:17], vcc
	s_cbranch_execz .LBB5_133
; %bb.124:
	v_bfe_u32 v25, v28, 23, 8
	s_movk_i32 s0, 0x7a
	v_sub_u32_e32 v29, 0x79, v25
	v_cmp_gt_u32_e32 vcc, s0, v25
	v_add_u32_e32 v28, 0xffffff81, v25
	v_cndmask_b32_e32 v29, 0, v29, vcc
	v_mov_b32_e32 v31, 0xffffff82
	v_cmp_eq_u32_e32 vcc, 0, v25
	v_cndmask_b32_e32 v25, v28, v31, vcc
	v_mov_b32_e32 v28, 0x78
	v_cndmask_b32_e32 v34, v29, v28, vcc
	v_add_u32_e32 v28, 20, v34
	v_or_b32_e32 v30, 0x800000, v18
	v_lshlrev_b64 v[28:29], v28, -1
	v_cndmask_b32_e32 v18, v30, v18, vcc
	v_not_b32_e32 v28, v28
	v_and_b32_e32 v30, v18, v28
	v_add_u32_e32 v28, 19, v34
	v_lshrrev_b64 v[18:19], v34, v[18:19]
	v_not_b32_e32 v29, v29
	v_lshlrev_b64 v[32:33], v28, 1
	v_lshrrev_b32_e32 v28, 23, v18
	v_and_b32_e32 v31, 0, v29
	v_add3_u32 v29, v34, v25, v28
	v_bfe_u32 v28, v18, 20, 1
	v_add_u32_e32 v28, -1, v28
	v_cmp_eq_u64_e32 vcc, v[30:31], v[32:33]
	v_cndmask_b32_e32 v28, 0, v28, vcc
	v_add_u32_e32 v28, v28, v18
	v_and_b32_e32 v28, 0xfffff, v28
	v_add_co_u32_e32 v18, vcc, v28, v18
	v_add_u32_e32 v25, 6, v29
	v_addc_co_u32_e32 v19, vcc, 0, v19, vcc
	v_cmp_ne_u32_e32 vcc, 0, v25
                                        ; implicit-def: $vgpr28
	s_and_saveexec_b64 s[0:1], vcc
	s_xor_b64 s[0:1], exec, s[0:1]
; %bb.125:
	s_mov_b64 s[18:19], 0xffffff
	v_add_u32_e32 v28, 7, v29
	v_cmp_lt_u64_e32 vcc, s[18:19], v[18:19]
	v_cndmask_b32_e32 v28, v25, v28, vcc
	v_cndmask_b32_e64 v25, 0, 1, vcc
	v_lshrrev_b64 v[18:19], v25, v[18:19]
; %bb.126:
	s_andn2_saveexec_b64 s[0:1], s[0:1]
; %bb.127:
	v_bfe_u32 v28, v18, 23, 1
; %bb.128:
	s_or_b64 exec, exec, s[0:1]
	v_lshrrev_b64 v[18:19], 20, v[18:19]
	v_cmp_gt_i32_e32 vcc, 16, v28
	v_cndmask_b32_e32 v19, 0, v19, vcc
	v_cndmask_b32_e32 v18, 7, v18, vcc
	v_cmp_ne_u32_e32 vcc, 0, v28
	v_cmp_ne_u64_e64 s[0:1], 0, v[18:19]
	s_or_b64 s[0:1], vcc, s[0:1]
                                        ; implicit-def: $vgpr25
	s_and_saveexec_b64 s[18:19], s[0:1]
	s_xor_b64 s[0:1], exec, s[18:19]
; %bb.129:
	v_min_i32_e32 v19, 15, v28
	v_lshl_or_b32 v2, v19, 3, v2
	v_and_or_b32 v25, v18, 7, v2
                                        ; implicit-def: $vgpr2
; %bb.130:
	s_andn2_saveexec_b64 s[0:1], s[0:1]
; %bb.131:
	v_mov_b32_e32 v25, v2
; %bb.132:
	s_or_b64 exec, exec, s[0:1]
.LBB5_133:
	s_or_b64 exec, exec, s[16:17]
.LBB5_134:
	s_andn2_saveexec_b64 s[0:1], s[14:15]
	s_or_b64 exec, exec, s[0:1]
                                        ; implicit-def: $vgpr28
                                        ; implicit-def: $vgpr18_vgpr19
.LBB5_135:
	s_andn2_saveexec_b64 s[0:1], s[8:9]
; %bb.136:
	s_movk_i32 s8, 0x7f
	v_or_b32_sdwa v2, v28, s8 dst_sel:DWORD dst_unused:UNUSED_PAD src0_sel:BYTE_3 src1_sel:DWORD
	v_cmp_eq_u64_e32 vcc, 0, v[18:19]
	v_cndmask_b32_e32 v25, v2, v25, vcc
; %bb.137:
	s_or_b64 exec, exec, s[0:1]
	v_mul_f32_e32 v2, v23, v3
	v_max_f32_e32 v2, 0xc3e00000, v2
	v_min_f32_e32 v28, 0x43e00000, v2
	v_mov_b32_e32 v3, 0
	s_movk_i32 s0, 0x80
	v_and_b32_sdwa v19, v28, s0 dst_sel:DWORD dst_unused:UNUSED_PAD src0_sel:BYTE_3 src1_sel:DWORD
	v_and_b32_e32 v30, 0x7f800000, v28
	v_mov_b32_e32 v31, v3
	s_mov_b64 s[0:1], 0x7f800000
	v_and_b32_e32 v2, 0x7fffff, v28
	v_or_b32_e32 v18, 0x7e, v19
	v_cmp_ne_u64_e32 vcc, s[0:1], v[30:31]
	s_and_saveexec_b64 s[0:1], vcc
	s_xor_b64 s[8:9], exec, s[0:1]
	s_cbranch_execz .LBB5_151
; %bb.138:
	v_and_b32_e32 v30, 0x7fffffff, v28
	v_mov_b32_e32 v31, v3
	s_mov_b64 s[0:1], 0x43e00001
	v_cmp_gt_u64_e32 vcc, s[0:1], v[30:31]
	s_and_saveexec_b64 s[0:1], vcc
	s_xor_b64 s[14:15], exec, s[0:1]
	s_cbranch_execz .LBB5_150
; %bb.139:
	v_cmp_ne_u32_e32 vcc, 0, v28
	v_mov_b32_e32 v18, 0
	s_and_saveexec_b64 s[16:17], vcc
	s_cbranch_execz .LBB5_149
; %bb.140:
	v_bfe_u32 v18, v28, 23, 8
	s_movk_i32 s0, 0x7a
	v_sub_u32_e32 v29, 0x79, v18
	v_cmp_gt_u32_e32 vcc, s0, v18
	v_add_u32_e32 v28, 0xffffff81, v18
	v_cndmask_b32_e32 v29, 0, v29, vcc
	v_mov_b32_e32 v31, 0xffffff82
	v_cmp_eq_u32_e32 vcc, 0, v18
	v_cndmask_b32_e32 v18, v28, v31, vcc
	v_mov_b32_e32 v28, 0x78
	v_cndmask_b32_e32 v34, v29, v28, vcc
	v_add_u32_e32 v28, 20, v34
	v_or_b32_e32 v30, 0x800000, v2
	v_lshlrev_b64 v[28:29], v28, -1
	v_cndmask_b32_e32 v2, v30, v2, vcc
	v_not_b32_e32 v28, v28
	v_and_b32_e32 v30, v2, v28
	v_add_u32_e32 v28, 19, v34
	v_lshrrev_b64 v[2:3], v34, v[2:3]
	v_not_b32_e32 v29, v29
	v_lshlrev_b64 v[32:33], v28, 1
	v_lshrrev_b32_e32 v28, 23, v2
	v_and_b32_e32 v31, 0, v29
	v_add3_u32 v29, v34, v18, v28
	v_bfe_u32 v28, v2, 20, 1
	v_add_u32_e32 v28, -1, v28
	v_cmp_eq_u64_e32 vcc, v[30:31], v[32:33]
	v_cndmask_b32_e32 v28, 0, v28, vcc
	v_add_u32_e32 v28, v28, v2
	v_and_b32_e32 v28, 0xfffff, v28
	v_add_co_u32_e32 v2, vcc, v28, v2
	v_add_u32_e32 v18, 6, v29
	v_addc_co_u32_e32 v3, vcc, 0, v3, vcc
	v_cmp_ne_u32_e32 vcc, 0, v18
                                        ; implicit-def: $vgpr28
	s_and_saveexec_b64 s[0:1], vcc
	s_xor_b64 s[0:1], exec, s[0:1]
; %bb.141:
	s_mov_b64 s[18:19], 0xffffff
	v_add_u32_e32 v28, 7, v29
	v_cmp_lt_u64_e32 vcc, s[18:19], v[2:3]
	v_cndmask_b32_e32 v28, v18, v28, vcc
	v_cndmask_b32_e64 v18, 0, 1, vcc
	v_lshrrev_b64 v[2:3], v18, v[2:3]
; %bb.142:
	s_andn2_saveexec_b64 s[0:1], s[0:1]
; %bb.143:
	v_bfe_u32 v28, v2, 23, 1
; %bb.144:
	s_or_b64 exec, exec, s[0:1]
	v_lshrrev_b64 v[2:3], 20, v[2:3]
	v_cmp_gt_i32_e32 vcc, 16, v28
	v_cndmask_b32_e32 v3, 0, v3, vcc
	v_cndmask_b32_e32 v2, 7, v2, vcc
	v_cmp_ne_u32_e32 vcc, 0, v28
	v_cmp_ne_u64_e64 s[0:1], 0, v[2:3]
	s_or_b64 s[0:1], vcc, s[0:1]
                                        ; implicit-def: $vgpr18
	s_and_saveexec_b64 s[18:19], s[0:1]
	s_xor_b64 s[0:1], exec, s[18:19]
; %bb.145:
	v_min_i32_e32 v3, 15, v28
	v_lshl_or_b32 v3, v3, 3, v19
	v_and_or_b32 v18, v2, 7, v3
                                        ; implicit-def: $vgpr19
; %bb.146:
	s_andn2_saveexec_b64 s[0:1], s[0:1]
; %bb.147:
	v_mov_b32_e32 v18, v19
; %bb.148:
	s_or_b64 exec, exec, s[0:1]
.LBB5_149:
	s_or_b64 exec, exec, s[16:17]
.LBB5_150:
	s_andn2_saveexec_b64 s[0:1], s[14:15]
	s_or_b64 exec, exec, s[0:1]
                                        ; implicit-def: $vgpr28
                                        ; implicit-def: $vgpr2_vgpr3
.LBB5_151:
	s_andn2_saveexec_b64 s[0:1], s[8:9]
; %bb.152:
	s_movk_i32 s8, 0x7f
	v_or_b32_sdwa v19, v28, s8 dst_sel:DWORD dst_unused:UNUSED_PAD src0_sel:BYTE_3 src1_sel:DWORD
	v_cmp_eq_u64_e32 vcc, 0, v[2:3]
	v_cndmask_b32_e32 v18, v19, v18, vcc
; %bb.153:
	s_or_b64 exec, exec, s[0:1]
	v_mul_f32_e32 v2, v23, v4
	v_max_f32_e32 v2, 0xc3e00000, v2
	v_min_f32_e32 v28, 0x43e00000, v2
	v_mov_b32_e32 v3, 0
	s_movk_i32 s0, 0x80
	v_and_b32_sdwa v19, v28, s0 dst_sel:DWORD dst_unused:UNUSED_PAD src0_sel:BYTE_3 src1_sel:DWORD
	v_and_b32_e32 v30, 0x7f800000, v28
	v_mov_b32_e32 v31, v3
	s_mov_b64 s[0:1], 0x7f800000
	v_and_b32_e32 v2, 0x7fffff, v28
	v_or_b32_e32 v4, 0x7e, v19
	v_cmp_ne_u64_e32 vcc, s[0:1], v[30:31]
	s_and_saveexec_b64 s[0:1], vcc
	s_xor_b64 s[8:9], exec, s[0:1]
	s_cbranch_execz .LBB5_167
; %bb.154:
	v_and_b32_e32 v30, 0x7fffffff, v28
	v_mov_b32_e32 v31, v3
	s_mov_b64 s[0:1], 0x43e00001
	v_cmp_gt_u64_e32 vcc, s[0:1], v[30:31]
	s_and_saveexec_b64 s[0:1], vcc
	s_xor_b64 s[14:15], exec, s[0:1]
	s_cbranch_execz .LBB5_166
; %bb.155:
	v_cmp_ne_u32_e32 vcc, 0, v28
	v_mov_b32_e32 v4, 0
	s_and_saveexec_b64 s[16:17], vcc
	s_cbranch_execz .LBB5_165
; %bb.156:
	v_bfe_u32 v4, v28, 23, 8
	s_movk_i32 s0, 0x7a
	v_sub_u32_e32 v29, 0x79, v4
	v_cmp_gt_u32_e32 vcc, s0, v4
	v_add_u32_e32 v28, 0xffffff81, v4
	v_cndmask_b32_e32 v29, 0, v29, vcc
	v_mov_b32_e32 v31, 0xffffff82
	v_cmp_eq_u32_e32 vcc, 0, v4
	v_cndmask_b32_e32 v4, v28, v31, vcc
	v_mov_b32_e32 v28, 0x78
	v_cndmask_b32_e32 v34, v29, v28, vcc
	v_add_u32_e32 v28, 20, v34
	v_or_b32_e32 v30, 0x800000, v2
	v_lshlrev_b64 v[28:29], v28, -1
	v_cndmask_b32_e32 v2, v30, v2, vcc
	v_not_b32_e32 v28, v28
	v_and_b32_e32 v30, v2, v28
	v_add_u32_e32 v28, 19, v34
	v_lshrrev_b64 v[2:3], v34, v[2:3]
	v_not_b32_e32 v29, v29
	v_lshlrev_b64 v[32:33], v28, 1
	v_lshrrev_b32_e32 v28, 23, v2
	v_and_b32_e32 v31, 0, v29
	v_add3_u32 v29, v34, v4, v28
	v_bfe_u32 v28, v2, 20, 1
	v_add_u32_e32 v28, -1, v28
	v_cmp_eq_u64_e32 vcc, v[30:31], v[32:33]
	v_cndmask_b32_e32 v28, 0, v28, vcc
	v_add_u32_e32 v28, v28, v2
	v_and_b32_e32 v28, 0xfffff, v28
	v_add_co_u32_e32 v2, vcc, v28, v2
	v_add_u32_e32 v4, 6, v29
	v_addc_co_u32_e32 v3, vcc, 0, v3, vcc
	v_cmp_ne_u32_e32 vcc, 0, v4
                                        ; implicit-def: $vgpr28
	s_and_saveexec_b64 s[0:1], vcc
	s_xor_b64 s[0:1], exec, s[0:1]
; %bb.157:
	s_mov_b64 s[18:19], 0xffffff
	v_add_u32_e32 v28, 7, v29
	v_cmp_lt_u64_e32 vcc, s[18:19], v[2:3]
	v_cndmask_b32_e32 v28, v4, v28, vcc
	v_cndmask_b32_e64 v4, 0, 1, vcc
	v_lshrrev_b64 v[2:3], v4, v[2:3]
; %bb.158:
	s_andn2_saveexec_b64 s[0:1], s[0:1]
; %bb.159:
	v_bfe_u32 v28, v2, 23, 1
; %bb.160:
	s_or_b64 exec, exec, s[0:1]
	v_lshrrev_b64 v[2:3], 20, v[2:3]
	v_cmp_gt_i32_e32 vcc, 16, v28
	v_cndmask_b32_e32 v3, 0, v3, vcc
	v_cndmask_b32_e32 v2, 7, v2, vcc
	v_cmp_ne_u32_e32 vcc, 0, v28
	v_cmp_ne_u64_e64 s[0:1], 0, v[2:3]
	s_or_b64 s[0:1], vcc, s[0:1]
                                        ; implicit-def: $vgpr4
	s_and_saveexec_b64 s[18:19], s[0:1]
	s_xor_b64 s[0:1], exec, s[18:19]
; %bb.161:
	v_min_i32_e32 v3, 15, v28
	v_lshl_or_b32 v3, v3, 3, v19
	v_and_or_b32 v4, v2, 7, v3
                                        ; implicit-def: $vgpr19
; %bb.162:
	s_andn2_saveexec_b64 s[0:1], s[0:1]
; %bb.163:
	v_mov_b32_e32 v4, v19
; %bb.164:
	s_or_b64 exec, exec, s[0:1]
.LBB5_165:
	s_or_b64 exec, exec, s[16:17]
.LBB5_166:
	s_andn2_saveexec_b64 s[0:1], s[14:15]
	s_or_b64 exec, exec, s[0:1]
                                        ; implicit-def: $vgpr28
                                        ; implicit-def: $vgpr2_vgpr3
.LBB5_167:
	s_andn2_saveexec_b64 s[0:1], s[8:9]
; %bb.168:
	s_movk_i32 s8, 0x7f
	v_or_b32_sdwa v19, v28, s8 dst_sel:DWORD dst_unused:UNUSED_PAD src0_sel:BYTE_3 src1_sel:DWORD
	v_cmp_eq_u64_e32 vcc, 0, v[2:3]
	v_cndmask_b32_e32 v4, v19, v4, vcc
; %bb.169:
	s_or_b64 exec, exec, s[0:1]
	v_mul_f32_e32 v2, v23, v5
	v_max_f32_e32 v2, 0xc3e00000, v2
	v_min_f32_e32 v28, 0x43e00000, v2
	v_mov_b32_e32 v3, 0
	s_movk_i32 s0, 0x80
	v_and_b32_sdwa v19, v28, s0 dst_sel:DWORD dst_unused:UNUSED_PAD src0_sel:BYTE_3 src1_sel:DWORD
	v_and_b32_e32 v30, 0x7f800000, v28
	v_mov_b32_e32 v31, v3
	s_mov_b64 s[0:1], 0x7f800000
	v_and_b32_e32 v2, 0x7fffff, v28
	v_or_b32_e32 v5, 0x7e, v19
	v_cmp_ne_u64_e32 vcc, s[0:1], v[30:31]
	s_and_saveexec_b64 s[0:1], vcc
	s_xor_b64 s[8:9], exec, s[0:1]
	s_cbranch_execz .LBB5_183
; %bb.170:
	v_and_b32_e32 v30, 0x7fffffff, v28
	v_mov_b32_e32 v31, v3
	s_mov_b64 s[0:1], 0x43e00001
	v_cmp_gt_u64_e32 vcc, s[0:1], v[30:31]
	s_and_saveexec_b64 s[0:1], vcc
	s_xor_b64 s[14:15], exec, s[0:1]
	s_cbranch_execz .LBB5_182
; %bb.171:
	v_cmp_ne_u32_e32 vcc, 0, v28
	v_mov_b32_e32 v5, 0
	s_and_saveexec_b64 s[16:17], vcc
	s_cbranch_execz .LBB5_181
; %bb.172:
	v_bfe_u32 v5, v28, 23, 8
	s_movk_i32 s0, 0x7a
	v_sub_u32_e32 v29, 0x79, v5
	v_cmp_gt_u32_e32 vcc, s0, v5
	v_add_u32_e32 v28, 0xffffff81, v5
	v_cndmask_b32_e32 v29, 0, v29, vcc
	v_mov_b32_e32 v31, 0xffffff82
	v_cmp_eq_u32_e32 vcc, 0, v5
	v_cndmask_b32_e32 v5, v28, v31, vcc
	v_mov_b32_e32 v28, 0x78
	v_cndmask_b32_e32 v34, v29, v28, vcc
	v_add_u32_e32 v28, 20, v34
	v_or_b32_e32 v30, 0x800000, v2
	v_lshlrev_b64 v[28:29], v28, -1
	v_cndmask_b32_e32 v2, v30, v2, vcc
	v_not_b32_e32 v28, v28
	v_and_b32_e32 v30, v2, v28
	v_add_u32_e32 v28, 19, v34
	v_lshrrev_b64 v[2:3], v34, v[2:3]
	v_not_b32_e32 v29, v29
	v_lshlrev_b64 v[32:33], v28, 1
	v_lshrrev_b32_e32 v28, 23, v2
	v_and_b32_e32 v31, 0, v29
	v_add3_u32 v29, v34, v5, v28
	v_bfe_u32 v28, v2, 20, 1
	v_add_u32_e32 v28, -1, v28
	v_cmp_eq_u64_e32 vcc, v[30:31], v[32:33]
	v_cndmask_b32_e32 v28, 0, v28, vcc
	v_add_u32_e32 v28, v28, v2
	v_and_b32_e32 v28, 0xfffff, v28
	v_add_co_u32_e32 v2, vcc, v28, v2
	v_add_u32_e32 v5, 6, v29
	v_addc_co_u32_e32 v3, vcc, 0, v3, vcc
	v_cmp_ne_u32_e32 vcc, 0, v5
                                        ; implicit-def: $vgpr28
	s_and_saveexec_b64 s[0:1], vcc
	s_xor_b64 s[0:1], exec, s[0:1]
; %bb.173:
	s_mov_b64 s[18:19], 0xffffff
	v_add_u32_e32 v28, 7, v29
	v_cmp_lt_u64_e32 vcc, s[18:19], v[2:3]
	v_cndmask_b32_e32 v28, v5, v28, vcc
	v_cndmask_b32_e64 v5, 0, 1, vcc
	v_lshrrev_b64 v[2:3], v5, v[2:3]
; %bb.174:
	s_andn2_saveexec_b64 s[0:1], s[0:1]
; %bb.175:
	v_bfe_u32 v28, v2, 23, 1
; %bb.176:
	s_or_b64 exec, exec, s[0:1]
	v_lshrrev_b64 v[2:3], 20, v[2:3]
	v_cmp_gt_i32_e32 vcc, 16, v28
	v_cndmask_b32_e32 v3, 0, v3, vcc
	v_cndmask_b32_e32 v2, 7, v2, vcc
	v_cmp_ne_u32_e32 vcc, 0, v28
	v_cmp_ne_u64_e64 s[0:1], 0, v[2:3]
	s_or_b64 s[0:1], vcc, s[0:1]
                                        ; implicit-def: $vgpr5
	s_and_saveexec_b64 s[18:19], s[0:1]
	s_xor_b64 s[0:1], exec, s[18:19]
; %bb.177:
	v_min_i32_e32 v3, 15, v28
	v_lshl_or_b32 v3, v3, 3, v19
	v_and_or_b32 v5, v2, 7, v3
                                        ; implicit-def: $vgpr19
; %bb.178:
	s_andn2_saveexec_b64 s[0:1], s[0:1]
; %bb.179:
	v_mov_b32_e32 v5, v19
; %bb.180:
	s_or_b64 exec, exec, s[0:1]
.LBB5_181:
	s_or_b64 exec, exec, s[16:17]
.LBB5_182:
	s_andn2_saveexec_b64 s[0:1], s[14:15]
	s_or_b64 exec, exec, s[0:1]
                                        ; implicit-def: $vgpr28
                                        ; implicit-def: $vgpr2_vgpr3
.LBB5_183:
	s_andn2_saveexec_b64 s[0:1], s[8:9]
; %bb.184:
	s_movk_i32 s8, 0x7f
	v_or_b32_sdwa v19, v28, s8 dst_sel:DWORD dst_unused:UNUSED_PAD src0_sel:BYTE_3 src1_sel:DWORD
	v_cmp_eq_u64_e32 vcc, 0, v[2:3]
	v_cndmask_b32_e32 v5, v19, v5, vcc
; %bb.185:
	s_or_b64 exec, exec, s[0:1]
	v_mul_f32_e32 v2, v23, v6
	v_max_f32_e32 v2, 0xc3e00000, v2
	v_min_f32_e32 v28, 0x43e00000, v2
	v_mov_b32_e32 v3, 0
	s_movk_i32 s0, 0x80
	v_and_b32_sdwa v19, v28, s0 dst_sel:DWORD dst_unused:UNUSED_PAD src0_sel:BYTE_3 src1_sel:DWORD
	v_and_b32_e32 v30, 0x7f800000, v28
	v_mov_b32_e32 v31, v3
	s_mov_b64 s[0:1], 0x7f800000
	v_and_b32_e32 v2, 0x7fffff, v28
	v_or_b32_e32 v6, 0x7e, v19
	v_cmp_ne_u64_e32 vcc, s[0:1], v[30:31]
	s_and_saveexec_b64 s[0:1], vcc
	s_xor_b64 s[8:9], exec, s[0:1]
	s_cbranch_execz .LBB5_199
; %bb.186:
	v_and_b32_e32 v30, 0x7fffffff, v28
	v_mov_b32_e32 v31, v3
	s_mov_b64 s[0:1], 0x43e00001
	v_cmp_gt_u64_e32 vcc, s[0:1], v[30:31]
	s_and_saveexec_b64 s[0:1], vcc
	s_xor_b64 s[14:15], exec, s[0:1]
	s_cbranch_execz .LBB5_198
; %bb.187:
	v_cmp_ne_u32_e32 vcc, 0, v28
	v_mov_b32_e32 v6, 0
	s_and_saveexec_b64 s[16:17], vcc
	s_cbranch_execz .LBB5_197
; %bb.188:
	v_bfe_u32 v6, v28, 23, 8
	s_movk_i32 s0, 0x7a
	v_sub_u32_e32 v29, 0x79, v6
	v_cmp_gt_u32_e32 vcc, s0, v6
	v_add_u32_e32 v28, 0xffffff81, v6
	v_cndmask_b32_e32 v29, 0, v29, vcc
	v_mov_b32_e32 v31, 0xffffff82
	v_cmp_eq_u32_e32 vcc, 0, v6
	v_cndmask_b32_e32 v6, v28, v31, vcc
	v_mov_b32_e32 v28, 0x78
	v_cndmask_b32_e32 v34, v29, v28, vcc
	v_add_u32_e32 v28, 20, v34
	v_or_b32_e32 v30, 0x800000, v2
	v_lshlrev_b64 v[28:29], v28, -1
	v_cndmask_b32_e32 v2, v30, v2, vcc
	v_not_b32_e32 v28, v28
	v_and_b32_e32 v30, v2, v28
	v_add_u32_e32 v28, 19, v34
	v_lshrrev_b64 v[2:3], v34, v[2:3]
	v_not_b32_e32 v29, v29
	v_lshlrev_b64 v[32:33], v28, 1
	v_lshrrev_b32_e32 v28, 23, v2
	v_and_b32_e32 v31, 0, v29
	v_add3_u32 v29, v34, v6, v28
	v_bfe_u32 v28, v2, 20, 1
	v_add_u32_e32 v28, -1, v28
	v_cmp_eq_u64_e32 vcc, v[30:31], v[32:33]
	v_cndmask_b32_e32 v28, 0, v28, vcc
	v_add_u32_e32 v28, v28, v2
	v_and_b32_e32 v28, 0xfffff, v28
	v_add_co_u32_e32 v2, vcc, v28, v2
	v_add_u32_e32 v6, 6, v29
	v_addc_co_u32_e32 v3, vcc, 0, v3, vcc
	v_cmp_ne_u32_e32 vcc, 0, v6
                                        ; implicit-def: $vgpr28
	s_and_saveexec_b64 s[0:1], vcc
	s_xor_b64 s[0:1], exec, s[0:1]
; %bb.189:
	s_mov_b64 s[18:19], 0xffffff
	v_add_u32_e32 v28, 7, v29
	v_cmp_lt_u64_e32 vcc, s[18:19], v[2:3]
	v_cndmask_b32_e32 v28, v6, v28, vcc
	v_cndmask_b32_e64 v6, 0, 1, vcc
	v_lshrrev_b64 v[2:3], v6, v[2:3]
; %bb.190:
	s_andn2_saveexec_b64 s[0:1], s[0:1]
; %bb.191:
	v_bfe_u32 v28, v2, 23, 1
; %bb.192:
	s_or_b64 exec, exec, s[0:1]
	v_lshrrev_b64 v[2:3], 20, v[2:3]
	v_cmp_gt_i32_e32 vcc, 16, v28
	v_cndmask_b32_e32 v3, 0, v3, vcc
	v_cndmask_b32_e32 v2, 7, v2, vcc
	v_cmp_ne_u32_e32 vcc, 0, v28
	v_cmp_ne_u64_e64 s[0:1], 0, v[2:3]
	s_or_b64 s[0:1], vcc, s[0:1]
                                        ; implicit-def: $vgpr6
	s_and_saveexec_b64 s[18:19], s[0:1]
	s_xor_b64 s[0:1], exec, s[18:19]
; %bb.193:
	v_min_i32_e32 v3, 15, v28
	v_lshl_or_b32 v3, v3, 3, v19
	v_and_or_b32 v6, v2, 7, v3
                                        ; implicit-def: $vgpr19
; %bb.194:
	s_andn2_saveexec_b64 s[0:1], s[0:1]
; %bb.195:
	v_mov_b32_e32 v6, v19
; %bb.196:
	s_or_b64 exec, exec, s[0:1]
.LBB5_197:
	s_or_b64 exec, exec, s[16:17]
.LBB5_198:
	s_andn2_saveexec_b64 s[0:1], s[14:15]
	s_or_b64 exec, exec, s[0:1]
                                        ; implicit-def: $vgpr28
                                        ; implicit-def: $vgpr2_vgpr3
.LBB5_199:
	s_andn2_saveexec_b64 s[0:1], s[8:9]
; %bb.200:
	s_movk_i32 s8, 0x7f
	v_or_b32_sdwa v19, v28, s8 dst_sel:DWORD dst_unused:UNUSED_PAD src0_sel:BYTE_3 src1_sel:DWORD
	v_cmp_eq_u64_e32 vcc, 0, v[2:3]
	v_cndmask_b32_e32 v6, v19, v6, vcc
; %bb.201:
	s_or_b64 exec, exec, s[0:1]
	v_mul_f32_e32 v2, v23, v7
	v_max_f32_e32 v2, 0xc3e00000, v2
	v_min_f32_e32 v28, 0x43e00000, v2
	v_mov_b32_e32 v3, 0
	s_movk_i32 s0, 0x80
	v_and_b32_sdwa v19, v28, s0 dst_sel:DWORD dst_unused:UNUSED_PAD src0_sel:BYTE_3 src1_sel:DWORD
	v_and_b32_e32 v30, 0x7f800000, v28
	v_mov_b32_e32 v31, v3
	s_mov_b64 s[0:1], 0x7f800000
	v_and_b32_e32 v2, 0x7fffff, v28
	v_or_b32_e32 v7, 0x7e, v19
	v_cmp_ne_u64_e32 vcc, s[0:1], v[30:31]
	s_and_saveexec_b64 s[0:1], vcc
	s_xor_b64 s[8:9], exec, s[0:1]
	s_cbranch_execz .LBB5_215
; %bb.202:
	v_and_b32_e32 v30, 0x7fffffff, v28
	v_mov_b32_e32 v31, v3
	s_mov_b64 s[0:1], 0x43e00001
	v_cmp_gt_u64_e32 vcc, s[0:1], v[30:31]
	s_and_saveexec_b64 s[0:1], vcc
	s_xor_b64 s[14:15], exec, s[0:1]
	s_cbranch_execz .LBB5_214
; %bb.203:
	v_cmp_ne_u32_e32 vcc, 0, v28
	v_mov_b32_e32 v7, 0
	s_and_saveexec_b64 s[16:17], vcc
	s_cbranch_execz .LBB5_213
; %bb.204:
	v_bfe_u32 v7, v28, 23, 8
	s_movk_i32 s0, 0x7a
	v_sub_u32_e32 v29, 0x79, v7
	v_cmp_gt_u32_e32 vcc, s0, v7
	v_add_u32_e32 v28, 0xffffff81, v7
	v_cndmask_b32_e32 v29, 0, v29, vcc
	v_mov_b32_e32 v31, 0xffffff82
	v_cmp_eq_u32_e32 vcc, 0, v7
	v_cndmask_b32_e32 v7, v28, v31, vcc
	v_mov_b32_e32 v28, 0x78
	v_cndmask_b32_e32 v34, v29, v28, vcc
	v_add_u32_e32 v28, 20, v34
	v_or_b32_e32 v30, 0x800000, v2
	v_lshlrev_b64 v[28:29], v28, -1
	v_cndmask_b32_e32 v2, v30, v2, vcc
	v_not_b32_e32 v28, v28
	v_and_b32_e32 v30, v2, v28
	v_add_u32_e32 v28, 19, v34
	v_lshrrev_b64 v[2:3], v34, v[2:3]
	v_not_b32_e32 v29, v29
	v_lshlrev_b64 v[32:33], v28, 1
	v_lshrrev_b32_e32 v28, 23, v2
	v_and_b32_e32 v31, 0, v29
	v_add3_u32 v29, v34, v7, v28
	v_bfe_u32 v28, v2, 20, 1
	v_add_u32_e32 v28, -1, v28
	v_cmp_eq_u64_e32 vcc, v[30:31], v[32:33]
	v_cndmask_b32_e32 v28, 0, v28, vcc
	v_add_u32_e32 v28, v28, v2
	v_and_b32_e32 v28, 0xfffff, v28
	v_add_co_u32_e32 v2, vcc, v28, v2
	v_add_u32_e32 v7, 6, v29
	v_addc_co_u32_e32 v3, vcc, 0, v3, vcc
	v_cmp_ne_u32_e32 vcc, 0, v7
                                        ; implicit-def: $vgpr28
	s_and_saveexec_b64 s[0:1], vcc
	s_xor_b64 s[0:1], exec, s[0:1]
; %bb.205:
	s_mov_b64 s[18:19], 0xffffff
	v_add_u32_e32 v28, 7, v29
	v_cmp_lt_u64_e32 vcc, s[18:19], v[2:3]
	v_cndmask_b32_e32 v28, v7, v28, vcc
	v_cndmask_b32_e64 v7, 0, 1, vcc
	v_lshrrev_b64 v[2:3], v7, v[2:3]
; %bb.206:
	s_andn2_saveexec_b64 s[0:1], s[0:1]
; %bb.207:
	v_bfe_u32 v28, v2, 23, 1
; %bb.208:
	s_or_b64 exec, exec, s[0:1]
	v_lshrrev_b64 v[2:3], 20, v[2:3]
	v_cmp_gt_i32_e32 vcc, 16, v28
	v_cndmask_b32_e32 v3, 0, v3, vcc
	v_cndmask_b32_e32 v2, 7, v2, vcc
	v_cmp_ne_u32_e32 vcc, 0, v28
	v_cmp_ne_u64_e64 s[0:1], 0, v[2:3]
	s_or_b64 s[0:1], vcc, s[0:1]
                                        ; implicit-def: $vgpr7
	s_and_saveexec_b64 s[18:19], s[0:1]
	s_xor_b64 s[0:1], exec, s[18:19]
; %bb.209:
	v_min_i32_e32 v3, 15, v28
	v_lshl_or_b32 v3, v3, 3, v19
	v_and_or_b32 v7, v2, 7, v3
                                        ; implicit-def: $vgpr19
; %bb.210:
	s_andn2_saveexec_b64 s[0:1], s[0:1]
; %bb.211:
	v_mov_b32_e32 v7, v19
; %bb.212:
	s_or_b64 exec, exec, s[0:1]
.LBB5_213:
	s_or_b64 exec, exec, s[16:17]
.LBB5_214:
	s_andn2_saveexec_b64 s[0:1], s[14:15]
	s_or_b64 exec, exec, s[0:1]
                                        ; implicit-def: $vgpr28
                                        ; implicit-def: $vgpr2_vgpr3
.LBB5_215:
	s_andn2_saveexec_b64 s[0:1], s[8:9]
; %bb.216:
	s_movk_i32 s8, 0x7f
	v_or_b32_sdwa v19, v28, s8 dst_sel:DWORD dst_unused:UNUSED_PAD src0_sel:BYTE_3 src1_sel:DWORD
	v_cmp_eq_u64_e32 vcc, 0, v[2:3]
	v_cndmask_b32_e32 v7, v19, v7, vcc
; %bb.217:
	s_or_b64 exec, exec, s[0:1]
	v_mul_f32_e32 v2, v23, v8
	v_max_f32_e32 v2, 0xc3e00000, v2
	v_min_f32_e32 v28, 0x43e00000, v2
	v_mov_b32_e32 v3, 0
	s_movk_i32 s0, 0x80
	v_and_b32_sdwa v19, v28, s0 dst_sel:DWORD dst_unused:UNUSED_PAD src0_sel:BYTE_3 src1_sel:DWORD
	v_and_b32_e32 v30, 0x7f800000, v28
	v_mov_b32_e32 v31, v3
	s_mov_b64 s[0:1], 0x7f800000
	v_and_b32_e32 v2, 0x7fffff, v28
	v_or_b32_e32 v8, 0x7e, v19
	v_cmp_ne_u64_e32 vcc, s[0:1], v[30:31]
	s_and_saveexec_b64 s[0:1], vcc
	s_xor_b64 s[8:9], exec, s[0:1]
	s_cbranch_execz .LBB5_231
; %bb.218:
	v_and_b32_e32 v30, 0x7fffffff, v28
	v_mov_b32_e32 v31, v3
	s_mov_b64 s[0:1], 0x43e00001
	v_cmp_gt_u64_e32 vcc, s[0:1], v[30:31]
	s_and_saveexec_b64 s[0:1], vcc
	s_xor_b64 s[14:15], exec, s[0:1]
	s_cbranch_execz .LBB5_230
; %bb.219:
	v_cmp_ne_u32_e32 vcc, 0, v28
	v_mov_b32_e32 v8, 0
	s_and_saveexec_b64 s[16:17], vcc
	s_cbranch_execz .LBB5_229
; %bb.220:
	v_bfe_u32 v8, v28, 23, 8
	s_movk_i32 s0, 0x7a
	v_sub_u32_e32 v29, 0x79, v8
	v_cmp_gt_u32_e32 vcc, s0, v8
	v_add_u32_e32 v28, 0xffffff81, v8
	v_cndmask_b32_e32 v29, 0, v29, vcc
	v_mov_b32_e32 v31, 0xffffff82
	v_cmp_eq_u32_e32 vcc, 0, v8
	v_cndmask_b32_e32 v8, v28, v31, vcc
	v_mov_b32_e32 v28, 0x78
	v_cndmask_b32_e32 v34, v29, v28, vcc
	v_add_u32_e32 v28, 20, v34
	v_or_b32_e32 v30, 0x800000, v2
	v_lshlrev_b64 v[28:29], v28, -1
	v_cndmask_b32_e32 v2, v30, v2, vcc
	v_not_b32_e32 v28, v28
	v_and_b32_e32 v30, v2, v28
	v_add_u32_e32 v28, 19, v34
	v_lshrrev_b64 v[2:3], v34, v[2:3]
	v_not_b32_e32 v29, v29
	v_lshlrev_b64 v[32:33], v28, 1
	v_lshrrev_b32_e32 v28, 23, v2
	v_and_b32_e32 v31, 0, v29
	v_add3_u32 v29, v34, v8, v28
	v_bfe_u32 v28, v2, 20, 1
	v_add_u32_e32 v28, -1, v28
	v_cmp_eq_u64_e32 vcc, v[30:31], v[32:33]
	v_cndmask_b32_e32 v28, 0, v28, vcc
	v_add_u32_e32 v28, v28, v2
	v_and_b32_e32 v28, 0xfffff, v28
	v_add_co_u32_e32 v2, vcc, v28, v2
	v_add_u32_e32 v8, 6, v29
	v_addc_co_u32_e32 v3, vcc, 0, v3, vcc
	v_cmp_ne_u32_e32 vcc, 0, v8
                                        ; implicit-def: $vgpr28
	s_and_saveexec_b64 s[0:1], vcc
	s_xor_b64 s[0:1], exec, s[0:1]
; %bb.221:
	s_mov_b64 s[18:19], 0xffffff
	v_add_u32_e32 v28, 7, v29
	v_cmp_lt_u64_e32 vcc, s[18:19], v[2:3]
	v_cndmask_b32_e32 v28, v8, v28, vcc
	v_cndmask_b32_e64 v8, 0, 1, vcc
	v_lshrrev_b64 v[2:3], v8, v[2:3]
; %bb.222:
	s_andn2_saveexec_b64 s[0:1], s[0:1]
; %bb.223:
	v_bfe_u32 v28, v2, 23, 1
; %bb.224:
	s_or_b64 exec, exec, s[0:1]
	v_lshrrev_b64 v[2:3], 20, v[2:3]
	v_cmp_gt_i32_e32 vcc, 16, v28
	v_cndmask_b32_e32 v3, 0, v3, vcc
	v_cndmask_b32_e32 v2, 7, v2, vcc
	v_cmp_ne_u32_e32 vcc, 0, v28
	v_cmp_ne_u64_e64 s[0:1], 0, v[2:3]
	s_or_b64 s[0:1], vcc, s[0:1]
                                        ; implicit-def: $vgpr8
	s_and_saveexec_b64 s[18:19], s[0:1]
	s_xor_b64 s[0:1], exec, s[18:19]
; %bb.225:
	v_min_i32_e32 v3, 15, v28
	v_lshl_or_b32 v3, v3, 3, v19
	v_and_or_b32 v8, v2, 7, v3
                                        ; implicit-def: $vgpr19
; %bb.226:
	s_andn2_saveexec_b64 s[0:1], s[0:1]
; %bb.227:
	v_mov_b32_e32 v8, v19
; %bb.228:
	s_or_b64 exec, exec, s[0:1]
.LBB5_229:
	s_or_b64 exec, exec, s[16:17]
.LBB5_230:
	s_andn2_saveexec_b64 s[0:1], s[14:15]
	s_or_b64 exec, exec, s[0:1]
                                        ; implicit-def: $vgpr28
                                        ; implicit-def: $vgpr2_vgpr3
.LBB5_231:
	s_andn2_saveexec_b64 s[0:1], s[8:9]
; %bb.232:
	s_movk_i32 s8, 0x7f
	v_or_b32_sdwa v19, v28, s8 dst_sel:DWORD dst_unused:UNUSED_PAD src0_sel:BYTE_3 src1_sel:DWORD
	v_cmp_eq_u64_e32 vcc, 0, v[2:3]
	v_cndmask_b32_e32 v8, v19, v8, vcc
; %bb.233:
	s_or_b64 exec, exec, s[0:1]
	v_mul_f32_e32 v2, v23, v9
	v_max_f32_e32 v2, 0xc3e00000, v2
	v_min_f32_e32 v28, 0x43e00000, v2
	v_mov_b32_e32 v3, 0
	s_movk_i32 s0, 0x80
	v_and_b32_sdwa v19, v28, s0 dst_sel:DWORD dst_unused:UNUSED_PAD src0_sel:BYTE_3 src1_sel:DWORD
	v_and_b32_e32 v30, 0x7f800000, v28
	v_mov_b32_e32 v31, v3
	s_mov_b64 s[0:1], 0x7f800000
	v_and_b32_e32 v2, 0x7fffff, v28
	v_or_b32_e32 v9, 0x7e, v19
	v_cmp_ne_u64_e32 vcc, s[0:1], v[30:31]
	s_and_saveexec_b64 s[0:1], vcc
	s_xor_b64 s[8:9], exec, s[0:1]
	s_cbranch_execz .LBB5_247
; %bb.234:
	v_and_b32_e32 v30, 0x7fffffff, v28
	v_mov_b32_e32 v31, v3
	s_mov_b64 s[0:1], 0x43e00001
	v_cmp_gt_u64_e32 vcc, s[0:1], v[30:31]
	s_and_saveexec_b64 s[0:1], vcc
	s_xor_b64 s[14:15], exec, s[0:1]
	s_cbranch_execz .LBB5_246
; %bb.235:
	v_cmp_ne_u32_e32 vcc, 0, v28
	v_mov_b32_e32 v9, 0
	s_and_saveexec_b64 s[16:17], vcc
	s_cbranch_execz .LBB5_245
; %bb.236:
	v_bfe_u32 v9, v28, 23, 8
	s_movk_i32 s0, 0x7a
	v_sub_u32_e32 v29, 0x79, v9
	v_cmp_gt_u32_e32 vcc, s0, v9
	v_add_u32_e32 v28, 0xffffff81, v9
	v_cndmask_b32_e32 v29, 0, v29, vcc
	v_mov_b32_e32 v31, 0xffffff82
	v_cmp_eq_u32_e32 vcc, 0, v9
	v_cndmask_b32_e32 v9, v28, v31, vcc
	v_mov_b32_e32 v28, 0x78
	v_cndmask_b32_e32 v34, v29, v28, vcc
	v_add_u32_e32 v28, 20, v34
	v_or_b32_e32 v30, 0x800000, v2
	v_lshlrev_b64 v[28:29], v28, -1
	v_cndmask_b32_e32 v2, v30, v2, vcc
	v_not_b32_e32 v28, v28
	v_and_b32_e32 v30, v2, v28
	v_add_u32_e32 v28, 19, v34
	v_lshrrev_b64 v[2:3], v34, v[2:3]
	v_not_b32_e32 v29, v29
	v_lshlrev_b64 v[32:33], v28, 1
	v_lshrrev_b32_e32 v28, 23, v2
	v_and_b32_e32 v31, 0, v29
	v_add3_u32 v29, v34, v9, v28
	v_bfe_u32 v28, v2, 20, 1
	v_add_u32_e32 v28, -1, v28
	v_cmp_eq_u64_e32 vcc, v[30:31], v[32:33]
	v_cndmask_b32_e32 v28, 0, v28, vcc
	v_add_u32_e32 v28, v28, v2
	v_and_b32_e32 v28, 0xfffff, v28
	v_add_co_u32_e32 v2, vcc, v28, v2
	v_add_u32_e32 v9, 6, v29
	v_addc_co_u32_e32 v3, vcc, 0, v3, vcc
	v_cmp_ne_u32_e32 vcc, 0, v9
                                        ; implicit-def: $vgpr28
	s_and_saveexec_b64 s[0:1], vcc
	s_xor_b64 s[0:1], exec, s[0:1]
; %bb.237:
	s_mov_b64 s[18:19], 0xffffff
	v_add_u32_e32 v28, 7, v29
	v_cmp_lt_u64_e32 vcc, s[18:19], v[2:3]
	v_cndmask_b32_e32 v28, v9, v28, vcc
	v_cndmask_b32_e64 v9, 0, 1, vcc
	v_lshrrev_b64 v[2:3], v9, v[2:3]
; %bb.238:
	s_andn2_saveexec_b64 s[0:1], s[0:1]
; %bb.239:
	v_bfe_u32 v28, v2, 23, 1
; %bb.240:
	s_or_b64 exec, exec, s[0:1]
	v_lshrrev_b64 v[2:3], 20, v[2:3]
	v_cmp_gt_i32_e32 vcc, 16, v28
	v_cndmask_b32_e32 v3, 0, v3, vcc
	v_cndmask_b32_e32 v2, 7, v2, vcc
	v_cmp_ne_u32_e32 vcc, 0, v28
	v_cmp_ne_u64_e64 s[0:1], 0, v[2:3]
	s_or_b64 s[0:1], vcc, s[0:1]
                                        ; implicit-def: $vgpr9
	s_and_saveexec_b64 s[18:19], s[0:1]
	s_xor_b64 s[0:1], exec, s[18:19]
; %bb.241:
	v_min_i32_e32 v3, 15, v28
	v_lshl_or_b32 v3, v3, 3, v19
	v_and_or_b32 v9, v2, 7, v3
                                        ; implicit-def: $vgpr19
; %bb.242:
	s_andn2_saveexec_b64 s[0:1], s[0:1]
; %bb.243:
	v_mov_b32_e32 v9, v19
; %bb.244:
	s_or_b64 exec, exec, s[0:1]
.LBB5_245:
	s_or_b64 exec, exec, s[16:17]
.LBB5_246:
	s_andn2_saveexec_b64 s[0:1], s[14:15]
	s_or_b64 exec, exec, s[0:1]
                                        ; implicit-def: $vgpr28
                                        ; implicit-def: $vgpr2_vgpr3
.LBB5_247:
	s_andn2_saveexec_b64 s[0:1], s[8:9]
; %bb.248:
	s_movk_i32 s8, 0x7f
	v_or_b32_sdwa v19, v28, s8 dst_sel:DWORD dst_unused:UNUSED_PAD src0_sel:BYTE_3 src1_sel:DWORD
	v_cmp_eq_u64_e32 vcc, 0, v[2:3]
	v_cndmask_b32_e32 v9, v19, v9, vcc
; %bb.249:
	s_or_b64 exec, exec, s[0:1]
	v_mul_f32_e32 v2, v23, v10
	v_max_f32_e32 v2, 0xc3e00000, v2
	v_min_f32_e32 v28, 0x43e00000, v2
	v_mov_b32_e32 v3, 0
	s_movk_i32 s0, 0x80
	v_and_b32_sdwa v19, v28, s0 dst_sel:DWORD dst_unused:UNUSED_PAD src0_sel:BYTE_3 src1_sel:DWORD
	v_and_b32_e32 v30, 0x7f800000, v28
	v_mov_b32_e32 v31, v3
	s_mov_b64 s[0:1], 0x7f800000
	v_and_b32_e32 v2, 0x7fffff, v28
	v_or_b32_e32 v10, 0x7e, v19
	v_cmp_ne_u64_e32 vcc, s[0:1], v[30:31]
	s_and_saveexec_b64 s[0:1], vcc
	s_xor_b64 s[8:9], exec, s[0:1]
	s_cbranch_execz .LBB5_263
; %bb.250:
	v_and_b32_e32 v30, 0x7fffffff, v28
	v_mov_b32_e32 v31, v3
	s_mov_b64 s[0:1], 0x43e00001
	v_cmp_gt_u64_e32 vcc, s[0:1], v[30:31]
	s_and_saveexec_b64 s[0:1], vcc
	s_xor_b64 s[14:15], exec, s[0:1]
	s_cbranch_execz .LBB5_262
; %bb.251:
	v_cmp_ne_u32_e32 vcc, 0, v28
	v_mov_b32_e32 v10, 0
	s_and_saveexec_b64 s[16:17], vcc
	s_cbranch_execz .LBB5_261
; %bb.252:
	v_bfe_u32 v10, v28, 23, 8
	s_movk_i32 s0, 0x7a
	v_sub_u32_e32 v29, 0x79, v10
	v_cmp_gt_u32_e32 vcc, s0, v10
	v_add_u32_e32 v28, 0xffffff81, v10
	v_cndmask_b32_e32 v29, 0, v29, vcc
	v_mov_b32_e32 v31, 0xffffff82
	v_cmp_eq_u32_e32 vcc, 0, v10
	v_cndmask_b32_e32 v10, v28, v31, vcc
	v_mov_b32_e32 v28, 0x78
	v_cndmask_b32_e32 v34, v29, v28, vcc
	v_add_u32_e32 v28, 20, v34
	v_or_b32_e32 v30, 0x800000, v2
	v_lshlrev_b64 v[28:29], v28, -1
	v_cndmask_b32_e32 v2, v30, v2, vcc
	v_not_b32_e32 v28, v28
	v_and_b32_e32 v30, v2, v28
	v_add_u32_e32 v28, 19, v34
	v_lshrrev_b64 v[2:3], v34, v[2:3]
	v_not_b32_e32 v29, v29
	v_lshlrev_b64 v[32:33], v28, 1
	v_lshrrev_b32_e32 v28, 23, v2
	v_and_b32_e32 v31, 0, v29
	v_add3_u32 v29, v34, v10, v28
	v_bfe_u32 v28, v2, 20, 1
	v_add_u32_e32 v28, -1, v28
	v_cmp_eq_u64_e32 vcc, v[30:31], v[32:33]
	v_cndmask_b32_e32 v28, 0, v28, vcc
	v_add_u32_e32 v28, v28, v2
	v_and_b32_e32 v28, 0xfffff, v28
	v_add_co_u32_e32 v2, vcc, v28, v2
	v_add_u32_e32 v10, 6, v29
	v_addc_co_u32_e32 v3, vcc, 0, v3, vcc
	v_cmp_ne_u32_e32 vcc, 0, v10
                                        ; implicit-def: $vgpr28
	s_and_saveexec_b64 s[0:1], vcc
	s_xor_b64 s[0:1], exec, s[0:1]
; %bb.253:
	s_mov_b64 s[18:19], 0xffffff
	v_add_u32_e32 v28, 7, v29
	v_cmp_lt_u64_e32 vcc, s[18:19], v[2:3]
	v_cndmask_b32_e32 v28, v10, v28, vcc
	v_cndmask_b32_e64 v10, 0, 1, vcc
	v_lshrrev_b64 v[2:3], v10, v[2:3]
; %bb.254:
	s_andn2_saveexec_b64 s[0:1], s[0:1]
; %bb.255:
	v_bfe_u32 v28, v2, 23, 1
; %bb.256:
	s_or_b64 exec, exec, s[0:1]
	v_lshrrev_b64 v[2:3], 20, v[2:3]
	v_cmp_gt_i32_e32 vcc, 16, v28
	v_cndmask_b32_e32 v3, 0, v3, vcc
	v_cndmask_b32_e32 v2, 7, v2, vcc
	v_cmp_ne_u32_e32 vcc, 0, v28
	v_cmp_ne_u64_e64 s[0:1], 0, v[2:3]
	s_or_b64 s[0:1], vcc, s[0:1]
                                        ; implicit-def: $vgpr10
	s_and_saveexec_b64 s[18:19], s[0:1]
	s_xor_b64 s[0:1], exec, s[18:19]
; %bb.257:
	v_min_i32_e32 v3, 15, v28
	v_lshl_or_b32 v3, v3, 3, v19
	v_and_or_b32 v10, v2, 7, v3
                                        ; implicit-def: $vgpr19
; %bb.258:
	s_andn2_saveexec_b64 s[0:1], s[0:1]
; %bb.259:
	v_mov_b32_e32 v10, v19
; %bb.260:
	s_or_b64 exec, exec, s[0:1]
.LBB5_261:
	s_or_b64 exec, exec, s[16:17]
.LBB5_262:
	s_andn2_saveexec_b64 s[0:1], s[14:15]
	s_or_b64 exec, exec, s[0:1]
                                        ; implicit-def: $vgpr28
                                        ; implicit-def: $vgpr2_vgpr3
.LBB5_263:
	s_andn2_saveexec_b64 s[0:1], s[8:9]
; %bb.264:
	s_movk_i32 s8, 0x7f
	v_or_b32_sdwa v19, v28, s8 dst_sel:DWORD dst_unused:UNUSED_PAD src0_sel:BYTE_3 src1_sel:DWORD
	v_cmp_eq_u64_e32 vcc, 0, v[2:3]
	v_cndmask_b32_e32 v10, v19, v10, vcc
; %bb.265:
	s_or_b64 exec, exec, s[0:1]
	v_mul_f32_e32 v2, v23, v11
	v_max_f32_e32 v2, 0xc3e00000, v2
	v_min_f32_e32 v28, 0x43e00000, v2
	v_mov_b32_e32 v3, 0
	s_movk_i32 s0, 0x80
	v_and_b32_sdwa v19, v28, s0 dst_sel:DWORD dst_unused:UNUSED_PAD src0_sel:BYTE_3 src1_sel:DWORD
	v_and_b32_e32 v30, 0x7f800000, v28
	v_mov_b32_e32 v31, v3
	s_mov_b64 s[0:1], 0x7f800000
	v_and_b32_e32 v2, 0x7fffff, v28
	v_or_b32_e32 v11, 0x7e, v19
	v_cmp_ne_u64_e32 vcc, s[0:1], v[30:31]
	s_and_saveexec_b64 s[0:1], vcc
	s_xor_b64 s[8:9], exec, s[0:1]
	s_cbranch_execz .LBB5_279
; %bb.266:
	v_and_b32_e32 v30, 0x7fffffff, v28
	v_mov_b32_e32 v31, v3
	s_mov_b64 s[0:1], 0x43e00001
	v_cmp_gt_u64_e32 vcc, s[0:1], v[30:31]
	s_and_saveexec_b64 s[0:1], vcc
	s_xor_b64 s[14:15], exec, s[0:1]
	s_cbranch_execz .LBB5_278
; %bb.267:
	v_cmp_ne_u32_e32 vcc, 0, v28
	v_mov_b32_e32 v11, 0
	s_and_saveexec_b64 s[16:17], vcc
	s_cbranch_execz .LBB5_277
; %bb.268:
	v_bfe_u32 v11, v28, 23, 8
	s_movk_i32 s0, 0x7a
	v_sub_u32_e32 v29, 0x79, v11
	v_cmp_gt_u32_e32 vcc, s0, v11
	v_add_u32_e32 v28, 0xffffff81, v11
	v_cndmask_b32_e32 v29, 0, v29, vcc
	v_mov_b32_e32 v31, 0xffffff82
	v_cmp_eq_u32_e32 vcc, 0, v11
	v_cndmask_b32_e32 v11, v28, v31, vcc
	v_mov_b32_e32 v28, 0x78
	v_cndmask_b32_e32 v34, v29, v28, vcc
	v_add_u32_e32 v28, 20, v34
	v_or_b32_e32 v30, 0x800000, v2
	v_lshlrev_b64 v[28:29], v28, -1
	v_cndmask_b32_e32 v2, v30, v2, vcc
	v_not_b32_e32 v28, v28
	v_and_b32_e32 v30, v2, v28
	v_add_u32_e32 v28, 19, v34
	v_lshrrev_b64 v[2:3], v34, v[2:3]
	v_not_b32_e32 v29, v29
	v_lshlrev_b64 v[32:33], v28, 1
	v_lshrrev_b32_e32 v28, 23, v2
	v_and_b32_e32 v31, 0, v29
	v_add3_u32 v29, v34, v11, v28
	v_bfe_u32 v28, v2, 20, 1
	v_add_u32_e32 v28, -1, v28
	v_cmp_eq_u64_e32 vcc, v[30:31], v[32:33]
	v_cndmask_b32_e32 v28, 0, v28, vcc
	v_add_u32_e32 v28, v28, v2
	v_and_b32_e32 v28, 0xfffff, v28
	v_add_co_u32_e32 v2, vcc, v28, v2
	v_add_u32_e32 v11, 6, v29
	v_addc_co_u32_e32 v3, vcc, 0, v3, vcc
	v_cmp_ne_u32_e32 vcc, 0, v11
                                        ; implicit-def: $vgpr28
	s_and_saveexec_b64 s[0:1], vcc
	s_xor_b64 s[0:1], exec, s[0:1]
; %bb.269:
	s_mov_b64 s[18:19], 0xffffff
	v_add_u32_e32 v28, 7, v29
	v_cmp_lt_u64_e32 vcc, s[18:19], v[2:3]
	v_cndmask_b32_e32 v28, v11, v28, vcc
	v_cndmask_b32_e64 v11, 0, 1, vcc
	v_lshrrev_b64 v[2:3], v11, v[2:3]
; %bb.270:
	s_andn2_saveexec_b64 s[0:1], s[0:1]
; %bb.271:
	v_bfe_u32 v28, v2, 23, 1
; %bb.272:
	s_or_b64 exec, exec, s[0:1]
	v_lshrrev_b64 v[2:3], 20, v[2:3]
	v_cmp_gt_i32_e32 vcc, 16, v28
	v_cndmask_b32_e32 v3, 0, v3, vcc
	v_cndmask_b32_e32 v2, 7, v2, vcc
	v_cmp_ne_u32_e32 vcc, 0, v28
	v_cmp_ne_u64_e64 s[0:1], 0, v[2:3]
	s_or_b64 s[0:1], vcc, s[0:1]
                                        ; implicit-def: $vgpr11
	s_and_saveexec_b64 s[18:19], s[0:1]
	s_xor_b64 s[0:1], exec, s[18:19]
; %bb.273:
	v_min_i32_e32 v3, 15, v28
	v_lshl_or_b32 v3, v3, 3, v19
	v_and_or_b32 v11, v2, 7, v3
                                        ; implicit-def: $vgpr19
; %bb.274:
	s_andn2_saveexec_b64 s[0:1], s[0:1]
; %bb.275:
	v_mov_b32_e32 v11, v19
; %bb.276:
	s_or_b64 exec, exec, s[0:1]
.LBB5_277:
	s_or_b64 exec, exec, s[16:17]
.LBB5_278:
	s_andn2_saveexec_b64 s[0:1], s[14:15]
	s_or_b64 exec, exec, s[0:1]
                                        ; implicit-def: $vgpr28
                                        ; implicit-def: $vgpr2_vgpr3
.LBB5_279:
	s_andn2_saveexec_b64 s[0:1], s[8:9]
; %bb.280:
	s_movk_i32 s8, 0x7f
	v_or_b32_sdwa v19, v28, s8 dst_sel:DWORD dst_unused:UNUSED_PAD src0_sel:BYTE_3 src1_sel:DWORD
	v_cmp_eq_u64_e32 vcc, 0, v[2:3]
	v_cndmask_b32_e32 v11, v19, v11, vcc
; %bb.281:
	s_or_b64 exec, exec, s[0:1]
	v_mul_f32_e32 v2, v23, v27
	v_max_f32_e32 v2, 0xc3e00000, v2
	v_min_f32_e32 v28, 0x43e00000, v2
	v_mov_b32_e32 v3, 0
	s_movk_i32 s0, 0x80
	v_and_b32_sdwa v27, v28, s0 dst_sel:DWORD dst_unused:UNUSED_PAD src0_sel:BYTE_3 src1_sel:DWORD
	v_and_b32_e32 v30, 0x7f800000, v28
	v_mov_b32_e32 v31, v3
	s_mov_b64 s[0:1], 0x7f800000
	v_and_b32_e32 v2, 0x7fffff, v28
	v_or_b32_e32 v19, 0x7e, v27
	v_cmp_ne_u64_e32 vcc, s[0:1], v[30:31]
	s_and_saveexec_b64 s[0:1], vcc
	s_xor_b64 s[8:9], exec, s[0:1]
	s_cbranch_execz .LBB5_295
; %bb.282:
	v_and_b32_e32 v30, 0x7fffffff, v28
	v_mov_b32_e32 v31, v3
	s_mov_b64 s[0:1], 0x43e00001
	v_cmp_gt_u64_e32 vcc, s[0:1], v[30:31]
	s_and_saveexec_b64 s[0:1], vcc
	s_xor_b64 s[14:15], exec, s[0:1]
	s_cbranch_execz .LBB5_294
; %bb.283:
	v_cmp_ne_u32_e32 vcc, 0, v28
	v_mov_b32_e32 v19, 0
	s_and_saveexec_b64 s[16:17], vcc
	s_cbranch_execz .LBB5_293
; %bb.284:
	v_bfe_u32 v19, v28, 23, 8
	s_movk_i32 s0, 0x7a
	v_sub_u32_e32 v29, 0x79, v19
	v_cmp_gt_u32_e32 vcc, s0, v19
	v_add_u32_e32 v28, 0xffffff81, v19
	v_cndmask_b32_e32 v29, 0, v29, vcc
	v_mov_b32_e32 v31, 0xffffff82
	v_cmp_eq_u32_e32 vcc, 0, v19
	v_cndmask_b32_e32 v19, v28, v31, vcc
	v_mov_b32_e32 v28, 0x78
	v_cndmask_b32_e32 v34, v29, v28, vcc
	v_add_u32_e32 v28, 20, v34
	v_or_b32_e32 v30, 0x800000, v2
	v_lshlrev_b64 v[28:29], v28, -1
	v_cndmask_b32_e32 v2, v30, v2, vcc
	v_not_b32_e32 v28, v28
	v_and_b32_e32 v30, v2, v28
	v_add_u32_e32 v28, 19, v34
	v_lshrrev_b64 v[2:3], v34, v[2:3]
	v_not_b32_e32 v29, v29
	v_lshlrev_b64 v[32:33], v28, 1
	v_lshrrev_b32_e32 v28, 23, v2
	v_and_b32_e32 v31, 0, v29
	v_add3_u32 v29, v34, v19, v28
	v_bfe_u32 v28, v2, 20, 1
	v_add_u32_e32 v28, -1, v28
	v_cmp_eq_u64_e32 vcc, v[30:31], v[32:33]
	v_cndmask_b32_e32 v28, 0, v28, vcc
	v_add_u32_e32 v28, v28, v2
	v_and_b32_e32 v28, 0xfffff, v28
	v_add_co_u32_e32 v2, vcc, v28, v2
	v_add_u32_e32 v19, 6, v29
	v_addc_co_u32_e32 v3, vcc, 0, v3, vcc
	v_cmp_ne_u32_e32 vcc, 0, v19
                                        ; implicit-def: $vgpr28
	s_and_saveexec_b64 s[0:1], vcc
	s_xor_b64 s[0:1], exec, s[0:1]
; %bb.285:
	s_mov_b64 s[18:19], 0xffffff
	v_add_u32_e32 v28, 7, v29
	v_cmp_lt_u64_e32 vcc, s[18:19], v[2:3]
	v_cndmask_b32_e32 v28, v19, v28, vcc
	v_cndmask_b32_e64 v19, 0, 1, vcc
	v_lshrrev_b64 v[2:3], v19, v[2:3]
; %bb.286:
	s_andn2_saveexec_b64 s[0:1], s[0:1]
; %bb.287:
	v_bfe_u32 v28, v2, 23, 1
; %bb.288:
	s_or_b64 exec, exec, s[0:1]
	v_lshrrev_b64 v[2:3], 20, v[2:3]
	v_cmp_gt_i32_e32 vcc, 16, v28
	v_cndmask_b32_e32 v3, 0, v3, vcc
	v_cndmask_b32_e32 v2, 7, v2, vcc
	v_cmp_ne_u32_e32 vcc, 0, v28
	v_cmp_ne_u64_e64 s[0:1], 0, v[2:3]
	s_or_b64 s[0:1], vcc, s[0:1]
                                        ; implicit-def: $vgpr19
	s_and_saveexec_b64 s[18:19], s[0:1]
	s_xor_b64 s[0:1], exec, s[18:19]
; %bb.289:
	v_min_i32_e32 v3, 15, v28
	v_lshl_or_b32 v3, v3, 3, v27
	v_and_or_b32 v19, v2, 7, v3
                                        ; implicit-def: $vgpr27
; %bb.290:
	s_andn2_saveexec_b64 s[0:1], s[0:1]
; %bb.291:
	v_mov_b32_e32 v19, v27
; %bb.292:
	s_or_b64 exec, exec, s[0:1]
.LBB5_293:
	s_or_b64 exec, exec, s[16:17]
.LBB5_294:
	s_andn2_saveexec_b64 s[0:1], s[14:15]
	s_or_b64 exec, exec, s[0:1]
                                        ; implicit-def: $vgpr28
                                        ; implicit-def: $vgpr2_vgpr3
.LBB5_295:
	s_andn2_saveexec_b64 s[0:1], s[8:9]
; %bb.296:
	s_movk_i32 s8, 0x7f
	v_or_b32_sdwa v27, v28, s8 dst_sel:DWORD dst_unused:UNUSED_PAD src0_sel:BYTE_3 src1_sel:DWORD
	v_cmp_eq_u64_e32 vcc, 0, v[2:3]
	v_cndmask_b32_e32 v19, v27, v19, vcc
; %bb.297:
	s_or_b64 exec, exec, s[0:1]
	v_mul_f32_e32 v2, v23, v26
	v_max_f32_e32 v2, 0xc3e00000, v2
	v_min_f32_e32 v28, 0x43e00000, v2
	v_mov_b32_e32 v3, 0
	s_movk_i32 s0, 0x80
	v_and_b32_sdwa v27, v28, s0 dst_sel:DWORD dst_unused:UNUSED_PAD src0_sel:BYTE_3 src1_sel:DWORD
	v_and_b32_e32 v30, 0x7f800000, v28
	v_mov_b32_e32 v31, v3
	s_mov_b64 s[0:1], 0x7f800000
	v_and_b32_e32 v2, 0x7fffff, v28
	v_or_b32_e32 v26, 0x7e, v27
	v_cmp_ne_u64_e32 vcc, s[0:1], v[30:31]
	s_and_saveexec_b64 s[0:1], vcc
	s_xor_b64 s[8:9], exec, s[0:1]
	s_cbranch_execz .LBB5_311
; %bb.298:
	v_and_b32_e32 v30, 0x7fffffff, v28
	v_mov_b32_e32 v31, v3
	s_mov_b64 s[0:1], 0x43e00001
	v_cmp_gt_u64_e32 vcc, s[0:1], v[30:31]
	s_and_saveexec_b64 s[0:1], vcc
	s_xor_b64 s[14:15], exec, s[0:1]
	s_cbranch_execz .LBB5_310
; %bb.299:
	v_cmp_ne_u32_e32 vcc, 0, v28
	v_mov_b32_e32 v26, 0
	s_and_saveexec_b64 s[16:17], vcc
	s_cbranch_execz .LBB5_309
; %bb.300:
	v_bfe_u32 v26, v28, 23, 8
	s_movk_i32 s0, 0x7a
	v_sub_u32_e32 v29, 0x79, v26
	v_cmp_gt_u32_e32 vcc, s0, v26
	v_add_u32_e32 v28, 0xffffff81, v26
	v_cndmask_b32_e32 v29, 0, v29, vcc
	v_mov_b32_e32 v31, 0xffffff82
	v_cmp_eq_u32_e32 vcc, 0, v26
	v_cndmask_b32_e32 v26, v28, v31, vcc
	v_mov_b32_e32 v28, 0x78
	v_cndmask_b32_e32 v34, v29, v28, vcc
	v_add_u32_e32 v28, 20, v34
	v_or_b32_e32 v30, 0x800000, v2
	v_lshlrev_b64 v[28:29], v28, -1
	v_cndmask_b32_e32 v2, v30, v2, vcc
	v_not_b32_e32 v28, v28
	v_and_b32_e32 v30, v2, v28
	v_add_u32_e32 v28, 19, v34
	v_lshrrev_b64 v[2:3], v34, v[2:3]
	v_not_b32_e32 v29, v29
	v_lshlrev_b64 v[32:33], v28, 1
	v_lshrrev_b32_e32 v28, 23, v2
	v_and_b32_e32 v31, 0, v29
	v_add3_u32 v29, v34, v26, v28
	v_bfe_u32 v28, v2, 20, 1
	v_add_u32_e32 v28, -1, v28
	v_cmp_eq_u64_e32 vcc, v[30:31], v[32:33]
	v_cndmask_b32_e32 v28, 0, v28, vcc
	v_add_u32_e32 v28, v28, v2
	v_and_b32_e32 v28, 0xfffff, v28
	v_add_co_u32_e32 v2, vcc, v28, v2
	v_add_u32_e32 v26, 6, v29
	v_addc_co_u32_e32 v3, vcc, 0, v3, vcc
	v_cmp_ne_u32_e32 vcc, 0, v26
                                        ; implicit-def: $vgpr28
	s_and_saveexec_b64 s[0:1], vcc
	s_xor_b64 s[0:1], exec, s[0:1]
; %bb.301:
	s_mov_b64 s[18:19], 0xffffff
	v_add_u32_e32 v28, 7, v29
	v_cmp_lt_u64_e32 vcc, s[18:19], v[2:3]
	v_cndmask_b32_e32 v28, v26, v28, vcc
	v_cndmask_b32_e64 v26, 0, 1, vcc
	v_lshrrev_b64 v[2:3], v26, v[2:3]
; %bb.302:
	s_andn2_saveexec_b64 s[0:1], s[0:1]
; %bb.303:
	v_bfe_u32 v28, v2, 23, 1
; %bb.304:
	s_or_b64 exec, exec, s[0:1]
	v_lshrrev_b64 v[2:3], 20, v[2:3]
	v_cmp_gt_i32_e32 vcc, 16, v28
	v_cndmask_b32_e32 v3, 0, v3, vcc
	v_cndmask_b32_e32 v2, 7, v2, vcc
	v_cmp_ne_u32_e32 vcc, 0, v28
	v_cmp_ne_u64_e64 s[0:1], 0, v[2:3]
	s_or_b64 s[0:1], vcc, s[0:1]
                                        ; implicit-def: $vgpr26
	s_and_saveexec_b64 s[18:19], s[0:1]
	s_xor_b64 s[0:1], exec, s[18:19]
; %bb.305:
	v_min_i32_e32 v3, 15, v28
	v_lshl_or_b32 v3, v3, 3, v27
	v_and_or_b32 v26, v2, 7, v3
                                        ; implicit-def: $vgpr27
; %bb.306:
	s_andn2_saveexec_b64 s[0:1], s[0:1]
; %bb.307:
	v_mov_b32_e32 v26, v27
; %bb.308:
	s_or_b64 exec, exec, s[0:1]
.LBB5_309:
	s_or_b64 exec, exec, s[16:17]
.LBB5_310:
	s_andn2_saveexec_b64 s[0:1], s[14:15]
	s_or_b64 exec, exec, s[0:1]
                                        ; implicit-def: $vgpr28
                                        ; implicit-def: $vgpr2_vgpr3
.LBB5_311:
	s_andn2_saveexec_b64 s[0:1], s[8:9]
; %bb.312:
	s_movk_i32 s8, 0x7f
	v_or_b32_sdwa v27, v28, s8 dst_sel:DWORD dst_unused:UNUSED_PAD src0_sel:BYTE_3 src1_sel:DWORD
	v_cmp_eq_u64_e32 vcc, 0, v[2:3]
	v_cndmask_b32_e32 v26, v27, v26, vcc
; %bb.313:
	s_or_b64 exec, exec, s[0:1]
	v_mul_f32_e32 v2, v23, v24
	v_max_f32_e32 v2, 0xc3e00000, v2
	v_min_f32_e32 v28, 0x43e00000, v2
	v_mov_b32_e32 v3, 0
	s_movk_i32 s0, 0x80
	v_and_b32_sdwa v27, v28, s0 dst_sel:DWORD dst_unused:UNUSED_PAD src0_sel:BYTE_3 src1_sel:DWORD
	v_and_b32_e32 v30, 0x7f800000, v28
	v_mov_b32_e32 v31, v3
	s_mov_b64 s[0:1], 0x7f800000
	v_and_b32_e32 v2, 0x7fffff, v28
	v_or_b32_e32 v24, 0x7e, v27
	v_cmp_ne_u64_e32 vcc, s[0:1], v[30:31]
	s_and_saveexec_b64 s[0:1], vcc
	s_xor_b64 s[8:9], exec, s[0:1]
	s_cbranch_execz .LBB5_327
; %bb.314:
	v_and_b32_e32 v30, 0x7fffffff, v28
	v_mov_b32_e32 v31, v3
	s_mov_b64 s[0:1], 0x43e00001
	v_cmp_gt_u64_e32 vcc, s[0:1], v[30:31]
	s_and_saveexec_b64 s[0:1], vcc
	s_xor_b64 s[14:15], exec, s[0:1]
	s_cbranch_execz .LBB5_326
; %bb.315:
	v_cmp_ne_u32_e32 vcc, 0, v28
	v_mov_b32_e32 v24, 0
	s_and_saveexec_b64 s[16:17], vcc
	s_cbranch_execz .LBB5_325
; %bb.316:
	v_bfe_u32 v24, v28, 23, 8
	s_movk_i32 s0, 0x7a
	v_sub_u32_e32 v29, 0x79, v24
	v_cmp_gt_u32_e32 vcc, s0, v24
	v_add_u32_e32 v28, 0xffffff81, v24
	v_cndmask_b32_e32 v29, 0, v29, vcc
	v_mov_b32_e32 v31, 0xffffff82
	v_cmp_eq_u32_e32 vcc, 0, v24
	v_cndmask_b32_e32 v24, v28, v31, vcc
	v_mov_b32_e32 v28, 0x78
	v_cndmask_b32_e32 v34, v29, v28, vcc
	v_add_u32_e32 v28, 20, v34
	v_or_b32_e32 v30, 0x800000, v2
	v_lshlrev_b64 v[28:29], v28, -1
	v_cndmask_b32_e32 v2, v30, v2, vcc
	v_not_b32_e32 v28, v28
	v_and_b32_e32 v30, v2, v28
	v_add_u32_e32 v28, 19, v34
	v_lshrrev_b64 v[2:3], v34, v[2:3]
	v_not_b32_e32 v29, v29
	v_lshlrev_b64 v[32:33], v28, 1
	v_lshrrev_b32_e32 v28, 23, v2
	v_and_b32_e32 v31, 0, v29
	v_add3_u32 v29, v34, v24, v28
	v_bfe_u32 v28, v2, 20, 1
	v_add_u32_e32 v28, -1, v28
	v_cmp_eq_u64_e32 vcc, v[30:31], v[32:33]
	v_cndmask_b32_e32 v28, 0, v28, vcc
	v_add_u32_e32 v28, v28, v2
	v_and_b32_e32 v28, 0xfffff, v28
	v_add_co_u32_e32 v2, vcc, v28, v2
	v_add_u32_e32 v24, 6, v29
	v_addc_co_u32_e32 v3, vcc, 0, v3, vcc
	v_cmp_ne_u32_e32 vcc, 0, v24
                                        ; implicit-def: $vgpr28
	s_and_saveexec_b64 s[0:1], vcc
	s_xor_b64 s[0:1], exec, s[0:1]
; %bb.317:
	s_mov_b64 s[18:19], 0xffffff
	v_add_u32_e32 v28, 7, v29
	v_cmp_lt_u64_e32 vcc, s[18:19], v[2:3]
	v_cndmask_b32_e32 v28, v24, v28, vcc
	v_cndmask_b32_e64 v24, 0, 1, vcc
	v_lshrrev_b64 v[2:3], v24, v[2:3]
; %bb.318:
	s_andn2_saveexec_b64 s[0:1], s[0:1]
; %bb.319:
	v_bfe_u32 v28, v2, 23, 1
; %bb.320:
	s_or_b64 exec, exec, s[0:1]
	v_lshrrev_b64 v[2:3], 20, v[2:3]
	v_cmp_gt_i32_e32 vcc, 16, v28
	v_cndmask_b32_e32 v3, 0, v3, vcc
	v_cndmask_b32_e32 v2, 7, v2, vcc
	v_cmp_ne_u32_e32 vcc, 0, v28
	v_cmp_ne_u64_e64 s[0:1], 0, v[2:3]
	s_or_b64 s[0:1], vcc, s[0:1]
                                        ; implicit-def: $vgpr24
	s_and_saveexec_b64 s[18:19], s[0:1]
	s_xor_b64 s[0:1], exec, s[18:19]
; %bb.321:
	v_min_i32_e32 v3, 15, v28
	v_lshl_or_b32 v3, v3, 3, v27
	v_and_or_b32 v24, v2, 7, v3
                                        ; implicit-def: $vgpr27
; %bb.322:
	s_andn2_saveexec_b64 s[0:1], s[0:1]
; %bb.323:
	v_mov_b32_e32 v24, v27
; %bb.324:
	s_or_b64 exec, exec, s[0:1]
.LBB5_325:
	s_or_b64 exec, exec, s[16:17]
.LBB5_326:
	s_andn2_saveexec_b64 s[0:1], s[14:15]
	s_or_b64 exec, exec, s[0:1]
                                        ; implicit-def: $vgpr28
                                        ; implicit-def: $vgpr2_vgpr3
.LBB5_327:
	s_andn2_saveexec_b64 s[0:1], s[8:9]
; %bb.328:
	s_movk_i32 s8, 0x7f
	v_or_b32_sdwa v27, v28, s8 dst_sel:DWORD dst_unused:UNUSED_PAD src0_sel:BYTE_3 src1_sel:DWORD
	v_cmp_eq_u64_e32 vcc, 0, v[2:3]
	v_cndmask_b32_e32 v24, v27, v24, vcc
; %bb.329:
	s_or_b64 exec, exec, s[0:1]
	v_mul_f32_e32 v2, v23, v22
	v_max_f32_e32 v2, 0xc3e00000, v2
	v_min_f32_e32 v27, 0x43e00000, v2
	v_mov_b32_e32 v3, 0
	s_movk_i32 s0, 0x80
	v_and_b32_sdwa v22, v27, s0 dst_sel:DWORD dst_unused:UNUSED_PAD src0_sel:BYTE_3 src1_sel:DWORD
	v_and_b32_e32 v28, 0x7f800000, v27
	v_mov_b32_e32 v29, v3
	s_mov_b64 s[0:1], 0x7f800000
	v_and_b32_e32 v2, 0x7fffff, v27
	v_or_b32_e32 v23, 0x7e, v22
	v_cmp_ne_u64_e32 vcc, s[0:1], v[28:29]
	s_and_saveexec_b64 s[0:1], vcc
	s_xor_b64 s[8:9], exec, s[0:1]
	s_cbranch_execz .LBB5_343
; %bb.330:
	v_and_b32_e32 v28, 0x7fffffff, v27
	v_mov_b32_e32 v29, v3
	s_mov_b64 s[0:1], 0x43e00001
	v_cmp_gt_u64_e32 vcc, s[0:1], v[28:29]
	s_and_saveexec_b64 s[0:1], vcc
	s_xor_b64 s[14:15], exec, s[0:1]
	s_cbranch_execz .LBB5_342
; %bb.331:
	v_cmp_ne_u32_e32 vcc, 0, v27
	v_mov_b32_e32 v23, 0
	s_and_saveexec_b64 s[16:17], vcc
	s_cbranch_execz .LBB5_341
; %bb.332:
	v_bfe_u32 v23, v27, 23, 8
	s_movk_i32 s0, 0x7a
	v_sub_u32_e32 v28, 0x79, v23
	v_cmp_gt_u32_e32 vcc, s0, v23
	v_add_u32_e32 v27, 0xffffff81, v23
	v_cndmask_b32_e32 v28, 0, v28, vcc
	v_mov_b32_e32 v30, 0xffffff82
	v_cmp_eq_u32_e32 vcc, 0, v23
	v_cndmask_b32_e32 v23, v27, v30, vcc
	v_mov_b32_e32 v27, 0x78
	v_cndmask_b32_e32 v27, v28, v27, vcc
	v_or_b32_e32 v29, 0x800000, v2
	v_add_u32_e32 v28, 20, v27
	v_cndmask_b32_e32 v2, v29, v2, vcc
	v_lshlrev_b64 v[28:29], v28, -1
	v_not_b32_e32 v28, v28
	v_and_b32_e32 v30, v2, v28
	v_add_u32_e32 v28, 19, v27
	v_lshrrev_b64 v[2:3], v27, v[2:3]
	v_not_b32_e32 v29, v29
	v_lshlrev_b64 v[32:33], v28, 1
	v_lshrrev_b32_e32 v28, 23, v2
	v_and_b32_e32 v31, 0, v29
	v_add3_u32 v28, v27, v23, v28
	v_bfe_u32 v27, v2, 20, 1
	v_add_u32_e32 v27, -1, v27
	v_cmp_eq_u64_e32 vcc, v[30:31], v[32:33]
	v_cndmask_b32_e32 v27, 0, v27, vcc
	v_add_u32_e32 v27, v27, v2
	v_and_b32_e32 v27, 0xfffff, v27
	v_add_co_u32_e32 v2, vcc, v27, v2
	v_add_u32_e32 v23, 6, v28
	v_addc_co_u32_e32 v3, vcc, 0, v3, vcc
	v_cmp_ne_u32_e32 vcc, 0, v23
                                        ; implicit-def: $vgpr27
	s_and_saveexec_b64 s[0:1], vcc
	s_xor_b64 s[0:1], exec, s[0:1]
; %bb.333:
	s_mov_b64 s[18:19], 0xffffff
	v_add_u32_e32 v27, 7, v28
	v_cmp_lt_u64_e32 vcc, s[18:19], v[2:3]
	v_cndmask_b32_e32 v27, v23, v27, vcc
	v_cndmask_b32_e64 v23, 0, 1, vcc
	v_lshrrev_b64 v[2:3], v23, v[2:3]
; %bb.334:
	s_andn2_saveexec_b64 s[0:1], s[0:1]
; %bb.335:
	v_bfe_u32 v27, v2, 23, 1
; %bb.336:
	s_or_b64 exec, exec, s[0:1]
	v_lshrrev_b64 v[2:3], 20, v[2:3]
	v_cmp_gt_i32_e32 vcc, 16, v27
	v_cndmask_b32_e32 v3, 0, v3, vcc
	v_cndmask_b32_e32 v2, 7, v2, vcc
	v_cmp_ne_u32_e32 vcc, 0, v27
	v_cmp_ne_u64_e64 s[0:1], 0, v[2:3]
	s_or_b64 s[0:1], vcc, s[0:1]
                                        ; implicit-def: $vgpr23
	s_and_saveexec_b64 s[18:19], s[0:1]
	s_xor_b64 s[0:1], exec, s[18:19]
; %bb.337:
	v_min_i32_e32 v3, 15, v27
	v_lshl_or_b32 v3, v3, 3, v22
	v_and_or_b32 v23, v2, 7, v3
                                        ; implicit-def: $vgpr22
; %bb.338:
	s_andn2_saveexec_b64 s[0:1], s[0:1]
; %bb.339:
	v_mov_b32_e32 v23, v22
; %bb.340:
	s_or_b64 exec, exec, s[0:1]
.LBB5_341:
	s_or_b64 exec, exec, s[16:17]
.LBB5_342:
	s_andn2_saveexec_b64 s[0:1], s[14:15]
	s_or_b64 exec, exec, s[0:1]
                                        ; implicit-def: $vgpr27
                                        ; implicit-def: $vgpr2_vgpr3
.LBB5_343:
	s_andn2_saveexec_b64 s[0:1], s[8:9]
; %bb.344:
	s_movk_i32 s8, 0x7f
	v_or_b32_sdwa v22, v27, s8 dst_sel:DWORD dst_unused:UNUSED_PAD src0_sel:BYTE_3 src1_sel:DWORD
	v_cmp_eq_u64_e32 vcc, 0, v[2:3]
	v_cndmask_b32_e32 v23, v22, v23, vcc
; %bb.345:
	s_or_b64 exec, exec, s[0:1]
	v_lshlrev_b64 v[2:3], 3, v[14:15]
	v_mov_b32_e32 v14, 0x240
	v_mad_i64_i32 v[14:15], s[0:1], s20, v14, v[16:17]
	v_add_co_u32_e32 v2, vcc, v14, v2
	v_lshlrev_b16_e32 v5, 8, v5
	v_addc_co_u32_e32 v3, vcc, v15, v3, vcc
	v_or_b32_sdwa v4, v4, v5 dst_sel:DWORD dst_unused:UNUSED_PAD src0_sel:BYTE_0 src1_sel:DWORD
	v_lshlrev_b16_e32 v5, 8, v7
	v_add_co_u32_e32 v14, vcc, v12, v46
	v_lshlrev_b16_e32 v9, 8, v9
	v_or_b32_sdwa v5, v6, v5 dst_sel:WORD_1 dst_unused:UNUSED_PAD src0_sel:BYTE_0 src1_sel:DWORD
	v_addc_co_u32_e32 v15, vcc, 0, v13, vcc
	v_lshlrev_b16_e32 v12, 8, v26
	v_lshlrev_b16_e32 v13, 8, v23
	v_or_b32_sdwa v8, v8, v9 dst_sel:DWORD dst_unused:UNUSED_PAD src0_sel:BYTE_0 src1_sel:DWORD
	v_lshlrev_b16_e32 v9, 8, v11
	v_or_b32_sdwa v11, v4, v5 dst_sel:DWORD dst_unused:UNUSED_PAD src0_sel:WORD_0 src1_sel:DWORD
	v_lshlrev_b16_e32 v1, 8, v1
	v_lshlrev_b16_e32 v4, 8, v18
	v_or_b32_sdwa v12, v19, v12 dst_sel:DWORD dst_unused:UNUSED_PAD src0_sel:BYTE_0 src1_sel:DWORD
	v_or_b32_sdwa v13, v24, v13 dst_sel:WORD_1 dst_unused:UNUSED_PAD src0_sel:BYTE_0 src1_sel:DWORD
	v_or_b32_sdwa v9, v10, v9 dst_sel:WORD_1 dst_unused:UNUSED_PAD src0_sel:BYTE_0 src1_sel:DWORD
	v_or_b32_sdwa v1, v21, v1 dst_sel:DWORD dst_unused:UNUSED_PAD src0_sel:BYTE_0 src1_sel:DWORD
	v_or_b32_sdwa v4, v25, v4 dst_sel:WORD_1 dst_unused:UNUSED_PAD src0_sel:BYTE_0 src1_sel:DWORD
	v_and_b32_e32 v0, 3, v0
	v_or_b32_sdwa v13, v12, v13 dst_sel:DWORD dst_unused:UNUSED_PAD src0_sel:WORD_0 src1_sel:DWORD
	v_or_b32_sdwa v12, v8, v9 dst_sel:DWORD dst_unused:UNUSED_PAD src0_sel:WORD_0 src1_sel:DWORD
	;; [unrolled: 1-line block ×3, first 2 shown]
	v_cmp_eq_u32_e32 vcc, 0, v0
	global_store_dwordx4 v[14:15], v[10:13], off
	s_and_saveexec_b64 s[0:1], vcc
	s_cbranch_execz .LBB5_347
; %bb.346:
	v_add_f32_e32 v1, 0x42fe0000, v20
	v_min_f32_e32 v1, 0x437f0000, v1
	v_max_f32_e32 v1, 0, v1
	v_cvt_i32_f32_e32 v4, v1
	v_lshrrev_b32_e32 v0, 2, v47
	v_add_co_u32_e32 v0, vcc, v2, v0
	v_addc_co_u32_e32 v1, vcc, 0, v3, vcc
	global_store_byte v[0:1], v4, off
.LBB5_347:
	s_or_b64 exec, exec, s[0:1]
	v_cmp_eq_u32_e32 vcc, 0, v47
	s_and_saveexec_b64 s[0:1], vcc
	s_cbranch_execz .LBB5_349
; %bb.348:
	v_mov_b32_e32 v0, 0
	global_store_byte v[2:3], v0, off offset:7
.LBB5_349:
	s_or_b64 exec, exec, s[0:1]
                                        ; implicit-def: $vgpr46
                                        ; implicit-def: $vgpr29
                                        ; implicit-def: $vgpr34
                                        ; implicit-def: $vgpr35
                                        ; implicit-def: $vgpr36
                                        ; implicit-def: $vgpr37
                                        ; implicit-def: $vgpr38
                                        ; implicit-def: $vgpr39
                                        ; implicit-def: $vgpr40
                                        ; implicit-def: $vgpr41
                                        ; implicit-def: $vgpr42
                                        ; implicit-def: $vgpr43
                                        ; implicit-def: $vgpr44
                                        ; implicit-def: $vgpr45
                                        ; implicit-def: $vgpr48
                                        ; implicit-def: $vgpr49
                                        ; implicit-def: $vgpr50
                                        ; implicit-def: $vgpr12_vgpr13
.LBB5_350:
	s_andn2_saveexec_b64 s[0:1], s[2:3]
                                        ; implicit-def: $vgpr11
	s_cbranch_execz .LBB5_352
; %bb.351:
	v_lshlrev_b32_e32 v0, 1, v46
	v_add_co_u32_e32 v4, vcc, v12, v0
	s_mov_b32 s0, 0x7060302
	v_addc_co_u32_e32 v5, vcc, 0, v13, vcc
	v_perm_b32 v3, v40, v39, s0
	v_perm_b32 v2, v38, v37, s0
	;; [unrolled: 1-line block ×4, first 2 shown]
	global_store_dwordx4 v[4:5], v[0:3], off offset:-448
	s_nop 0
	v_perm_b32 v3, v50, v49, s0
	v_perm_b32 v2, v48, v45, s0
	;; [unrolled: 1-line block ×4, first 2 shown]
	global_store_dwordx4 v[4:5], v[0:3], off offset:-432
.LBB5_352:
	s_or_b64 exec, exec, s[10:11]
                                        ; implicit-def: $vgpr10
                                        ; implicit-def: $vgpr44
                                        ; implicit-def: $vgpr46
                                        ; implicit-def: $vgpr12_vgpr13_vgpr14_vgpr15_vgpr16_vgpr17_vgpr18_vgpr19_vgpr20_vgpr21_vgpr22_vgpr23_vgpr24_vgpr25_vgpr26_vgpr27
	s_andn2_saveexec_b64 s[0:1], s[12:13]
	s_cbranch_execz .LBB5_17
.LBB5_353:
	s_mov_b32 s2, 0x7f800000
	v_and_b32_e32 v0, 0x7f800000, v12
	v_cmp_ne_u32_e32 vcc, s2, v0
                                        ; implicit-def: $vgpr0
	s_and_saveexec_b64 s[2:3], vcc
	s_xor_b64 s[2:3], exec, s[2:3]
; %bb.354:
	v_bfe_u32 v0, v12, 16, 1
	s_movk_i32 s8, 0x7fff
	v_add3_u32 v0, v12, v0, s8
; %bb.355:
	s_andn2_saveexec_b64 s[2:3], s[2:3]
; %bb.356:
	v_mov_b32_e32 v0, 0
	v_or_b32_e32 v1, 0x10000, v12
	v_cmp_eq_u32_sdwa vcc, v12, v0 src0_sel:WORD_0 src1_sel:DWORD
	v_cndmask_b32_e32 v0, v1, v12, vcc
; %bb.357:
	s_or_b64 exec, exec, s[2:3]
	s_mov_b32 s2, 0x7f800000
	v_and_b32_e32 v1, 0x7f800000, v13
	v_cmp_ne_u32_e32 vcc, s2, v1
                                        ; implicit-def: $vgpr1
	s_and_saveexec_b64 s[2:3], vcc
	s_xor_b64 s[2:3], exec, s[2:3]
; %bb.358:
	v_bfe_u32 v1, v13, 16, 1
	s_movk_i32 s8, 0x7fff
	v_add3_u32 v1, v13, v1, s8
; %bb.359:
	s_andn2_saveexec_b64 s[2:3], s[2:3]
; %bb.360:
	v_mov_b32_e32 v1, 0
	v_or_b32_e32 v2, 0x10000, v13
	v_cmp_eq_u32_sdwa vcc, v13, v1 src0_sel:WORD_0 src1_sel:DWORD
	v_cndmask_b32_e32 v1, v2, v13, vcc
; %bb.361:
	s_or_b64 exec, exec, s[2:3]
	s_mov_b32 s2, 0x7f800000
	v_and_b32_e32 v2, 0x7f800000, v14
	v_cmp_ne_u32_e32 vcc, s2, v2
                                        ; implicit-def: $vgpr2
	s_and_saveexec_b64 s[2:3], vcc
	s_xor_b64 s[2:3], exec, s[2:3]
; %bb.362:
	v_bfe_u32 v2, v14, 16, 1
	s_movk_i32 s8, 0x7fff
	v_add3_u32 v2, v14, v2, s8
; %bb.363:
	s_andn2_saveexec_b64 s[2:3], s[2:3]
; %bb.364:
	v_mov_b32_e32 v2, 0
	v_or_b32_e32 v3, 0x10000, v14
	v_cmp_eq_u32_sdwa vcc, v14, v2 src0_sel:WORD_0 src1_sel:DWORD
	v_cndmask_b32_e32 v2, v3, v14, vcc
; %bb.365:
	s_or_b64 exec, exec, s[2:3]
	s_mov_b32 s2, 0x7f800000
	v_and_b32_e32 v3, 0x7f800000, v15
	v_cmp_ne_u32_e32 vcc, s2, v3
                                        ; implicit-def: $vgpr3
	s_and_saveexec_b64 s[2:3], vcc
	s_xor_b64 s[2:3], exec, s[2:3]
; %bb.366:
	v_bfe_u32 v3, v15, 16, 1
	s_movk_i32 s8, 0x7fff
	v_add3_u32 v3, v15, v3, s8
; %bb.367:
	s_andn2_saveexec_b64 s[2:3], s[2:3]
; %bb.368:
	v_mov_b32_e32 v3, 0
	v_or_b32_e32 v4, 0x10000, v15
	v_cmp_eq_u32_sdwa vcc, v15, v3 src0_sel:WORD_0 src1_sel:DWORD
	v_cndmask_b32_e32 v3, v4, v15, vcc
; %bb.369:
	s_or_b64 exec, exec, s[2:3]
	s_mov_b32 s2, 0x7f800000
	v_and_b32_e32 v4, 0x7f800000, v16
	v_cmp_ne_u32_e32 vcc, s2, v4
                                        ; implicit-def: $vgpr4
	s_and_saveexec_b64 s[2:3], vcc
	s_xor_b64 s[2:3], exec, s[2:3]
; %bb.370:
	v_bfe_u32 v4, v16, 16, 1
	s_movk_i32 s8, 0x7fff
	v_add3_u32 v4, v16, v4, s8
; %bb.371:
	s_andn2_saveexec_b64 s[2:3], s[2:3]
; %bb.372:
	v_mov_b32_e32 v4, 0
	v_or_b32_e32 v5, 0x10000, v16
	v_cmp_eq_u32_sdwa vcc, v16, v4 src0_sel:WORD_0 src1_sel:DWORD
	v_cndmask_b32_e32 v4, v5, v16, vcc
; %bb.373:
	s_or_b64 exec, exec, s[2:3]
	s_mov_b32 s2, 0x7f800000
	v_and_b32_e32 v5, 0x7f800000, v17
	v_cmp_ne_u32_e32 vcc, s2, v5
                                        ; implicit-def: $vgpr5
	s_and_saveexec_b64 s[2:3], vcc
	s_xor_b64 s[2:3], exec, s[2:3]
; %bb.374:
	v_bfe_u32 v5, v17, 16, 1
	s_movk_i32 s8, 0x7fff
	v_add3_u32 v5, v17, v5, s8
; %bb.375:
	s_andn2_saveexec_b64 s[2:3], s[2:3]
; %bb.376:
	v_mov_b32_e32 v5, 0
	v_or_b32_e32 v6, 0x10000, v17
	v_cmp_eq_u32_sdwa vcc, v17, v5 src0_sel:WORD_0 src1_sel:DWORD
	v_cndmask_b32_e32 v5, v6, v17, vcc
; %bb.377:
	s_or_b64 exec, exec, s[2:3]
	s_mov_b32 s2, 0x7f800000
	v_and_b32_e32 v6, 0x7f800000, v18
	v_cmp_ne_u32_e32 vcc, s2, v6
                                        ; implicit-def: $vgpr6
	s_and_saveexec_b64 s[2:3], vcc
	s_xor_b64 s[2:3], exec, s[2:3]
; %bb.378:
	v_bfe_u32 v6, v18, 16, 1
	s_movk_i32 s8, 0x7fff
	v_add3_u32 v6, v18, v6, s8
; %bb.379:
	s_andn2_saveexec_b64 s[2:3], s[2:3]
; %bb.380:
	v_mov_b32_e32 v6, 0
	v_or_b32_e32 v7, 0x10000, v18
	v_cmp_eq_u32_sdwa vcc, v18, v6 src0_sel:WORD_0 src1_sel:DWORD
	v_cndmask_b32_e32 v6, v7, v18, vcc
; %bb.381:
	s_or_b64 exec, exec, s[2:3]
	s_mov_b32 s2, 0x7f800000
	s_waitcnt lgkmcnt(0)
	v_and_b32_e32 v7, 0x7f800000, v19
	v_cmp_ne_u32_e32 vcc, s2, v7
                                        ; implicit-def: $vgpr7
	s_and_saveexec_b64 s[2:3], vcc
	s_xor_b64 s[2:3], exec, s[2:3]
; %bb.382:
	v_bfe_u32 v7, v19, 16, 1
	s_movk_i32 s8, 0x7fff
	v_add3_u32 v7, v19, v7, s8
; %bb.383:
	s_andn2_saveexec_b64 s[2:3], s[2:3]
; %bb.384:
	v_mov_b32_e32 v7, 0
	v_or_b32_e32 v8, 0x10000, v19
	v_cmp_eq_u32_sdwa vcc, v19, v7 src0_sel:WORD_0 src1_sel:DWORD
	v_cndmask_b32_e32 v7, v8, v19, vcc
; %bb.385:
	s_or_b64 exec, exec, s[2:3]
	s_mov_b32 s2, 0x7f800000
	v_and_b32_e32 v8, 0x7f800000, v20
	v_cmp_ne_u32_e32 vcc, s2, v8
                                        ; implicit-def: $vgpr8
	s_and_saveexec_b64 s[2:3], vcc
	s_xor_b64 s[2:3], exec, s[2:3]
; %bb.386:
	v_bfe_u32 v8, v20, 16, 1
	s_movk_i32 s8, 0x7fff
	v_add3_u32 v8, v20, v8, s8
; %bb.387:
	s_andn2_saveexec_b64 s[2:3], s[2:3]
; %bb.388:
	v_mov_b32_e32 v8, 0
	v_or_b32_e32 v9, 0x10000, v20
	v_cmp_eq_u32_sdwa vcc, v20, v8 src0_sel:WORD_0 src1_sel:DWORD
	v_cndmask_b32_e32 v8, v9, v20, vcc
; %bb.389:
	s_or_b64 exec, exec, s[2:3]
	s_mov_b32 s2, 0x7f800000
	v_and_b32_e32 v9, 0x7f800000, v21
	v_cmp_ne_u32_e32 vcc, s2, v9
                                        ; implicit-def: $vgpr9
	s_and_saveexec_b64 s[2:3], vcc
	s_xor_b64 s[2:3], exec, s[2:3]
; %bb.390:
	v_bfe_u32 v9, v21, 16, 1
	s_movk_i32 s8, 0x7fff
	v_add3_u32 v9, v21, v9, s8
; %bb.391:
	s_andn2_saveexec_b64 s[2:3], s[2:3]
; %bb.392:
	v_mov_b32_e32 v9, 0
	v_or_b32_e32 v12, 0x10000, v21
	v_cmp_eq_u32_sdwa vcc, v21, v9 src0_sel:WORD_0 src1_sel:DWORD
	v_cndmask_b32_e32 v9, v12, v21, vcc
; %bb.393:
	s_or_b64 exec, exec, s[2:3]
	s_mov_b32 s2, 0x7f800000
	v_and_b32_e32 v12, 0x7f800000, v22
	v_cmp_ne_u32_e32 vcc, s2, v12
                                        ; implicit-def: $vgpr28
	s_and_saveexec_b64 s[2:3], vcc
	s_xor_b64 s[2:3], exec, s[2:3]
; %bb.394:
	v_bfe_u32 v12, v22, 16, 1
	s_movk_i32 s8, 0x7fff
	v_add3_u32 v28, v22, v12, s8
; %bb.395:
	s_andn2_saveexec_b64 s[2:3], s[2:3]
; %bb.396:
	v_mov_b32_e32 v12, 0
	v_or_b32_e32 v13, 0x10000, v22
	v_cmp_eq_u32_sdwa vcc, v22, v12 src0_sel:WORD_0 src1_sel:DWORD
	v_cndmask_b32_e32 v28, v13, v22, vcc
; %bb.397:
	s_or_b64 exec, exec, s[2:3]
	s_mov_b32 s2, 0x7f800000
	v_and_b32_e32 v12, 0x7f800000, v23
	v_cmp_ne_u32_e32 vcc, s2, v12
                                        ; implicit-def: $vgpr29
	s_and_saveexec_b64 s[2:3], vcc
	s_xor_b64 s[2:3], exec, s[2:3]
; %bb.398:
	v_bfe_u32 v12, v23, 16, 1
	s_movk_i32 s8, 0x7fff
	v_add3_u32 v29, v23, v12, s8
; %bb.399:
	s_andn2_saveexec_b64 s[2:3], s[2:3]
; %bb.400:
	v_mov_b32_e32 v12, 0
	v_or_b32_e32 v13, 0x10000, v23
	v_cmp_eq_u32_sdwa vcc, v23, v12 src0_sel:WORD_0 src1_sel:DWORD
	v_cndmask_b32_e32 v29, v13, v23, vcc
; %bb.401:
	s_or_b64 exec, exec, s[2:3]
	s_mov_b32 s2, 0x7f800000
	v_and_b32_e32 v12, 0x7f800000, v24
	v_cmp_ne_u32_e32 vcc, s2, v12
                                        ; implicit-def: $vgpr30
	s_and_saveexec_b64 s[2:3], vcc
	s_xor_b64 s[2:3], exec, s[2:3]
; %bb.402:
	v_bfe_u32 v12, v24, 16, 1
	s_movk_i32 s8, 0x7fff
	v_add3_u32 v30, v24, v12, s8
; %bb.403:
	s_andn2_saveexec_b64 s[2:3], s[2:3]
; %bb.404:
	v_mov_b32_e32 v12, 0
	v_or_b32_e32 v13, 0x10000, v24
	v_cmp_eq_u32_sdwa vcc, v24, v12 src0_sel:WORD_0 src1_sel:DWORD
	v_cndmask_b32_e32 v30, v13, v24, vcc
; %bb.405:
	s_or_b64 exec, exec, s[2:3]
	s_mov_b32 s2, 0x7f800000
	v_and_b32_e32 v12, 0x7f800000, v25
	v_cmp_ne_u32_e32 vcc, s2, v12
                                        ; implicit-def: $vgpr31
	s_and_saveexec_b64 s[2:3], vcc
	s_xor_b64 s[2:3], exec, s[2:3]
; %bb.406:
	v_bfe_u32 v12, v25, 16, 1
	s_movk_i32 s8, 0x7fff
	v_add3_u32 v31, v25, v12, s8
; %bb.407:
	s_andn2_saveexec_b64 s[2:3], s[2:3]
; %bb.408:
	v_mov_b32_e32 v12, 0
	v_or_b32_e32 v13, 0x10000, v25
	v_cmp_eq_u32_sdwa vcc, v25, v12 src0_sel:WORD_0 src1_sel:DWORD
	v_cndmask_b32_e32 v31, v13, v25, vcc
; %bb.409:
	s_or_b64 exec, exec, s[2:3]
	s_mov_b32 s2, 0x7f800000
	v_and_b32_e32 v12, 0x7f800000, v26
	v_cmp_ne_u32_e32 vcc, s2, v12
                                        ; implicit-def: $vgpr32
	s_and_saveexec_b64 s[2:3], vcc
	s_xor_b64 s[2:3], exec, s[2:3]
; %bb.410:
	v_bfe_u32 v12, v26, 16, 1
	s_movk_i32 s8, 0x7fff
	v_add3_u32 v32, v26, v12, s8
; %bb.411:
	s_andn2_saveexec_b64 s[2:3], s[2:3]
; %bb.412:
	v_mov_b32_e32 v12, 0
	v_or_b32_e32 v13, 0x10000, v26
	v_cmp_eq_u32_sdwa vcc, v26, v12 src0_sel:WORD_0 src1_sel:DWORD
	v_cndmask_b32_e32 v32, v13, v26, vcc
; %bb.413:
	s_or_b64 exec, exec, s[2:3]
	s_mov_b32 s2, 0x7f800000
	v_and_b32_e32 v12, 0x7f800000, v27
	v_cmp_ne_u32_e32 vcc, s2, v12
                                        ; implicit-def: $vgpr33
	s_and_saveexec_b64 s[2:3], vcc
	s_xor_b64 s[2:3], exec, s[2:3]
; %bb.414:
	v_bfe_u32 v12, v27, 16, 1
	s_movk_i32 s8, 0x7fff
	v_add3_u32 v33, v27, v12, s8
                                        ; implicit-def: $vgpr12_vgpr13_vgpr14_vgpr15_vgpr16_vgpr17_vgpr18_vgpr19_vgpr20_vgpr21_vgpr22_vgpr23_vgpr24_vgpr25_vgpr26_vgpr27
; %bb.415:
	s_andn2_saveexec_b64 s[2:3], s[2:3]
; %bb.416:
	v_mov_b32_e32 v12, 0
	v_or_b32_e32 v13, 0x10000, v27
	v_cmp_eq_u32_sdwa vcc, v27, v12 src0_sel:WORD_0 src1_sel:DWORD
	v_cndmask_b32_e32 v33, v13, v27, vcc
; %bb.417:
	s_or_b64 exec, exec, s[2:3]
	v_lshlrev_b64 v[10:11], 13, v[10:11]
	v_ashrrev_i32_e32 v45, 31, v44
	v_mov_b32_e32 v12, s7
	v_add_co_u32_e32 v13, vcc, s6, v10
	v_addc_co_u32_e32 v12, vcc, v12, v11, vcc
	v_lshlrev_b64 v[10:11], 10, v[44:45]
	v_add_co_u32_e32 v10, vcc, v13, v10
	v_addc_co_u32_e32 v11, vcc, v12, v11, vcc
	v_lshlrev_b32_e32 v12, 1, v46
	v_add_co_u32_e32 v10, vcc, v10, v12
	s_mov_b32 s2, 0x7060302
	v_addc_co_u32_e32 v11, vcc, 0, v11, vcc
	v_perm_b32 v7, v7, v6, s2
	v_perm_b32 v6, v5, v4, s2
	;; [unrolled: 1-line block ×8, first 2 shown]
	global_store_dwordx4 v[10:11], v[4:7], off
	global_store_dwordx4 v[10:11], v[0:3], off offset:16
	s_or_b64 exec, exec, s[0:1]
                                        ; implicit-def: $vgpr10
                                        ; implicit-def: $vgpr44
                                        ; implicit-def: $vgpr46
	s_andn2_saveexec_b64 s[0:1], s[4:5]
	s_cbranch_execnz .LBB5_9
	s_branch .LBB5_10
	.section	.rodata,"a",@progbits
	.p2align	6, 0x0
	.amdhsa_kernel _ZN4vllm21deepseek_v4_fused_ops47fusedDeepseekV4QNormRopeKVRopeQuantInsertKernelIN3c108BFloat16ELi8EEEvPKT_PS4_S6_PhPKlSA_PKffiiiii
		.amdhsa_group_segment_fixed_size 0
		.amdhsa_private_segment_fixed_size 0
		.amdhsa_kernarg_size 336
		.amdhsa_user_sgpr_count 6
		.amdhsa_user_sgpr_private_segment_buffer 1
		.amdhsa_user_sgpr_dispatch_ptr 0
		.amdhsa_user_sgpr_queue_ptr 0
		.amdhsa_user_sgpr_kernarg_segment_ptr 1
		.amdhsa_user_sgpr_dispatch_id 0
		.amdhsa_user_sgpr_flat_scratch_init 0
		.amdhsa_user_sgpr_kernarg_preload_length 0
		.amdhsa_user_sgpr_kernarg_preload_offset 0
		.amdhsa_user_sgpr_private_segment_size 0
		.amdhsa_uses_dynamic_stack 0
		.amdhsa_system_sgpr_private_segment_wavefront_offset 0
		.amdhsa_system_sgpr_workgroup_id_x 1
		.amdhsa_system_sgpr_workgroup_id_y 0
		.amdhsa_system_sgpr_workgroup_id_z 0
		.amdhsa_system_sgpr_workgroup_info 0
		.amdhsa_system_vgpr_workitem_id 0
		.amdhsa_next_free_vgpr 56
		.amdhsa_next_free_sgpr 28
		.amdhsa_accum_offset 56
		.amdhsa_reserve_vcc 1
		.amdhsa_reserve_flat_scratch 0
		.amdhsa_float_round_mode_32 0
		.amdhsa_float_round_mode_16_64 0
		.amdhsa_float_denorm_mode_32 3
		.amdhsa_float_denorm_mode_16_64 3
		.amdhsa_dx10_clamp 1
		.amdhsa_ieee_mode 1
		.amdhsa_fp16_overflow 0
		.amdhsa_tg_split 0
		.amdhsa_exception_fp_ieee_invalid_op 0
		.amdhsa_exception_fp_denorm_src 0
		.amdhsa_exception_fp_ieee_div_zero 0
		.amdhsa_exception_fp_ieee_overflow 0
		.amdhsa_exception_fp_ieee_underflow 0
		.amdhsa_exception_fp_ieee_inexact 0
		.amdhsa_exception_int_div_zero 0
	.end_amdhsa_kernel
	.section	.text._ZN4vllm21deepseek_v4_fused_ops47fusedDeepseekV4QNormRopeKVRopeQuantInsertKernelIN3c108BFloat16ELi8EEEvPKT_PS4_S6_PhPKlSA_PKffiiiii,"axG",@progbits,_ZN4vllm21deepseek_v4_fused_ops47fusedDeepseekV4QNormRopeKVRopeQuantInsertKernelIN3c108BFloat16ELi8EEEvPKT_PS4_S6_PhPKlSA_PKffiiiii,comdat
.Lfunc_end5:
	.size	_ZN4vllm21deepseek_v4_fused_ops47fusedDeepseekV4QNormRopeKVRopeQuantInsertKernelIN3c108BFloat16ELi8EEEvPKT_PS4_S6_PhPKlSA_PKffiiiii, .Lfunc_end5-_ZN4vllm21deepseek_v4_fused_ops47fusedDeepseekV4QNormRopeKVRopeQuantInsertKernelIN3c108BFloat16ELi8EEEvPKT_PS4_S6_PhPKlSA_PKffiiiii
                                        ; -- End function
	.section	.AMDGPU.csdata,"",@progbits
; Kernel info:
; codeLenInByte = 14132
; NumSgprs: 32
; NumVgprs: 56
; NumAgprs: 0
; TotalNumVgprs: 56
; ScratchSize: 0
; MemoryBound: 1
; FloatMode: 240
; IeeeMode: 1
; LDSByteSize: 0 bytes/workgroup (compile time only)
; SGPRBlocks: 3
; VGPRBlocks: 6
; NumSGPRsForWavesPerEU: 32
; NumVGPRsForWavesPerEU: 56
; AccumOffset: 56
; Occupancy: 8
; WaveLimiterHint : 1
; COMPUTE_PGM_RSRC2:SCRATCH_EN: 0
; COMPUTE_PGM_RSRC2:USER_SGPR: 6
; COMPUTE_PGM_RSRC2:TRAP_HANDLER: 0
; COMPUTE_PGM_RSRC2:TGID_X_EN: 1
; COMPUTE_PGM_RSRC2:TGID_Y_EN: 0
; COMPUTE_PGM_RSRC2:TGID_Z_EN: 0
; COMPUTE_PGM_RSRC2:TIDIG_COMP_CNT: 0
; COMPUTE_PGM_RSRC3_GFX90A:ACCUM_OFFSET: 13
; COMPUTE_PGM_RSRC3_GFX90A:TG_SPLIT: 0
	.section	.text._ZN4vllm21deepseek_v4_fused_ops47fusedDeepseekV4QNormRopeKVRopeQuantInsertKernelIN3c108BFloat16ELi16EEEvPKT_PS4_S6_PhPKlSA_PKffiiiii,"axG",@progbits,_ZN4vllm21deepseek_v4_fused_ops47fusedDeepseekV4QNormRopeKVRopeQuantInsertKernelIN3c108BFloat16ELi16EEEvPKT_PS4_S6_PhPKlSA_PKffiiiii,comdat
	.protected	_ZN4vllm21deepseek_v4_fused_ops47fusedDeepseekV4QNormRopeKVRopeQuantInsertKernelIN3c108BFloat16ELi16EEEvPKT_PS4_S6_PhPKlSA_PKffiiiii ; -- Begin function _ZN4vllm21deepseek_v4_fused_ops47fusedDeepseekV4QNormRopeKVRopeQuantInsertKernelIN3c108BFloat16ELi16EEEvPKT_PS4_S6_PhPKlSA_PKffiiiii
	.globl	_ZN4vllm21deepseek_v4_fused_ops47fusedDeepseekV4QNormRopeKVRopeQuantInsertKernelIN3c108BFloat16ELi16EEEvPKT_PS4_S6_PhPKlSA_PKffiiiii
	.p2align	8
	.type	_ZN4vllm21deepseek_v4_fused_ops47fusedDeepseekV4QNormRopeKVRopeQuantInsertKernelIN3c108BFloat16ELi16EEEvPKT_PS4_S6_PhPKlSA_PKffiiiii,@function
_ZN4vllm21deepseek_v4_fused_ops47fusedDeepseekV4QNormRopeKVRopeQuantInsertKernelIN3c108BFloat16ELi16EEEvPKT_PS4_S6_PhPKlSA_PKffiiiii: ; @_ZN4vllm21deepseek_v4_fused_ops47fusedDeepseekV4QNormRopeKVRopeQuantInsertKernelIN3c108BFloat16ELi16EEEvPKT_PS4_S6_PhPKlSA_PKffiiiii
; %bb.0:
	s_load_dword s0, s[4:5], 0x5c
	s_load_dwordx4 s[16:19], s[4:5], 0x38
	v_lshrrev_b32_e32 v1, 5, v0
	s_waitcnt lgkmcnt(0)
	s_bfe_u32 s0, s0, 0xb0005
	s_mul_i32 s6, s6, s0
	v_add_u32_e32 v1, s6, v1
	s_mov_b32 s0, 0x78787879
	v_mul_hi_i32 v2, v1, s0
	v_lshrrev_b32_e32 v3, 31, v2
	v_ashrrev_i32_e32 v2, 3, v2
	v_add_u32_e32 v10, v2, v3
	v_cmp_gt_i32_e32 vcc, s17, v10
	s_and_saveexec_b64 s[0:1], vcc
	s_cbranch_execz .LBB6_10
; %bb.1:
	s_load_dwordx2 s[20:21], s[4:5], 0x48
	v_lshl_add_u32 v2, v10, 4, v10
	v_sub_u32_e32 v44, v1, v2
	v_cmp_ne_u32_e64 s[0:1], 16, v44
	v_cmp_gt_i32_e64 s[2:3], s18, v10
	v_cmp_eq_u32_e32 vcc, 16, v44
	s_or_b64 s[2:3], s[0:1], s[2:3]
	s_and_b64 exec, exec, s[2:3]
	s_cbranch_execz .LBB6_10
; %bb.2:
	s_load_dwordx2 s[6:7], s[4:5], 0x8
	s_load_dwordx8 s[8:15], s[4:5], 0x18
	v_cmp_gt_i32_e64 s[2:3], s19, v44
	s_xor_b64 s[22:23], s[0:1], -1
	v_and_b32_e32 v47, 31, v0
	s_or_b64 s[22:23], s[22:23], s[2:3]
	v_lshlrev_b32_e32 v46, 4, v47
	v_ashrrev_i32_e32 v11, 31, v10
                                        ; implicit-def: $vgpr9
                                        ; implicit-def: $vgpr5
	s_and_saveexec_b64 s[24:25], s[22:23]
	s_cbranch_execz .LBB6_11
; %bb.3:
                                        ; implicit-def: $vgpr12_vgpr13
	s_and_saveexec_b64 s[2:3], vcc
	s_xor_b64 s[26:27], exec, s[2:3]
	s_cbranch_execz .LBB6_5
; %bb.4:
	s_load_dwordx2 s[2:3], s[4:5], 0x10
	v_lshlrev_b64 v[2:3], 10, v[10:11]
	s_waitcnt lgkmcnt(0)
	v_mov_b32_e32 v1, s3
	v_add_co_u32_e64 v2, s[2:3], s2, v2
	v_addc_co_u32_e64 v1, s[2:3], v1, v3, s[2:3]
	v_lshlrev_b32_e32 v3, 1, v46
	v_add_co_u32_e64 v12, s[2:3], v2, v3
	v_addc_co_u32_e64 v13, s[2:3], 0, v1, s[2:3]
.LBB6_5:
	s_andn2_saveexec_b64 s[26:27], s[26:27]
	s_cbranch_execz .LBB6_7
; %bb.6:
	s_load_dwordx2 s[2:3], s[4:5], 0x0
	v_ashrrev_i32_e32 v45, 31, v44
	v_mad_i64_i32 v[2:3], s[4:5], v10, s19, v[44:45]
	v_lshlrev_b64 v[2:3], 10, v[2:3]
	v_lshl_or_b32 v1, v46, 1, v2
	s_waitcnt lgkmcnt(0)
	v_mov_b32_e32 v2, s3
	v_add_co_u32_e64 v12, s[2:3], s2, v1
	v_addc_co_u32_e64 v13, s[2:3], v2, v3, s[2:3]
.LBB6_7:
	s_or_b64 exec, exec, s[26:27]
	global_load_dwordx4 v[6:9], v[12:13], off
	global_load_dwordx4 v[2:5], v[12:13], off offset:16
	s_or_b64 exec, exec, s[24:25]
	s_and_saveexec_b64 s[2:3], s[22:23]
	s_xor_b64 s[4:5], exec, s[2:3]
	s_cbranch_execnz .LBB6_12
.LBB6_8:
	s_andn2_saveexec_b64 s[0:1], s[4:5]
	s_cbranch_execz .LBB6_10
.LBB6_9:
	v_lshlrev_b64 v[0:1], 14, v[10:11]
	v_ashrrev_i32_e32 v45, 31, v44
	s_waitcnt vmcnt(0) lgkmcnt(0)
	v_mov_b32_e32 v2, s7
	v_add_co_u32_e32 v3, vcc, s6, v0
	v_addc_co_u32_e32 v2, vcc, v2, v1, vcc
	v_lshlrev_b64 v[0:1], 10, v[44:45]
	v_add_co_u32_e32 v0, vcc, v3, v0
	v_addc_co_u32_e32 v1, vcc, v2, v1, vcc
	v_lshlrev_b32_e32 v2, 1, v46
	s_mov_b32 s0, 0
	v_add_co_u32_e32 v4, vcc, v0, v2
	s_mov_b32 s1, s0
	v_addc_co_u32_e32 v5, vcc, 0, v1, vcc
	s_mov_b32 s2, s0
	s_mov_b32 s3, s0
	v_pk_mov_b32 v[0:1], s[0:1], s[0:1] op_sel:[0,1]
	v_pk_mov_b32 v[2:3], s[2:3], s[2:3] op_sel:[0,1]
	global_store_dwordx4 v[4:5], v[0:3], off
	global_store_dwordx4 v[4:5], v[0:3], off offset:16
.LBB6_10:
	s_endpgm
.LBB6_11:
	s_or_b64 exec, exec, s[24:25]
	s_and_saveexec_b64 s[2:3], s[22:23]
	s_xor_b64 s[4:5], exec, s[2:3]
	s_cbranch_execz .LBB6_8
.LBB6_12:
	s_waitcnt vmcnt(1)
	v_and_b32_e32 v13, 0xffff0000, v6
	v_lshlrev_b32_e32 v12, 16, v6
	v_and_b32_e32 v15, 0xffff0000, v7
	v_lshlrev_b32_e32 v14, 16, v7
	;; [unrolled: 2-line block ×4, first 2 shown]
	s_waitcnt vmcnt(0)
	v_and_b32_e32 v21, 0xffff0000, v2
	v_lshlrev_b32_e32 v20, 16, v2
	v_and_b32_e32 v23, 0xffff0000, v3
	v_lshlrev_b32_e32 v22, 16, v3
	;; [unrolled: 2-line block ×4, first 2 shown]
	s_and_saveexec_b64 s[2:3], s[0:1]
	s_cbranch_execz .LBB6_14
; %bb.13:
	v_pk_mul_f32 v[2:3], v[12:13], v[12:13]
	v_pk_mul_f32 v[4:5], v[14:15], v[14:15]
	v_add_f32_e32 v1, v2, v3
	v_add_f32_e32 v1, v4, v1
	v_pk_mul_f32 v[6:7], v[16:17], v[16:17]
	v_add_f32_e32 v1, v5, v1
	v_add_f32_e32 v1, v6, v1
	;; [unrolled: 3-line block ×4, first 2 shown]
	v_pk_mul_f32 v[30:31], v[22:23], v[22:23]
	v_add_f32_e32 v1, v29, v1
	v_mbcnt_lo_u32_b32 v2, -1, 0
	v_add_f32_e32 v1, v30, v1
	v_mbcnt_hi_u32_b32 v2, -1, v2
	v_pk_mul_f32 v[32:33], v[24:25], v[24:25]
	v_add_f32_e32 v1, v31, v1
	v_and_b32_e32 v3, 0x60, v2
	v_add_f32_e32 v1, v32, v1
	v_add_u32_e32 v3, 32, v3
	v_xor_b32_e32 v4, 16, v2
	v_pk_mul_f32 v[34:35], v[26:27], v[26:27]
	v_add_f32_e32 v1, v33, v1
	v_cmp_lt_i32_e64 s[0:1], v4, v3
	v_add_f32_e32 v1, v34, v1
	v_cndmask_b32_e64 v4, v2, v4, s[0:1]
	v_add_f32_e32 v1, v35, v1
	v_lshlrev_b32_e32 v4, 2, v4
	ds_bpermute_b32 v4, v4, v1
	s_waitcnt lgkmcnt(0)
	v_add_f32_e32 v1, v1, v4
	v_xor_b32_e32 v4, 8, v2
	v_cmp_lt_i32_e64 s[0:1], v4, v3
	v_cndmask_b32_e64 v4, v2, v4, s[0:1]
	v_lshlrev_b32_e32 v4, 2, v4
	ds_bpermute_b32 v4, v4, v1
	s_waitcnt lgkmcnt(0)
	v_add_f32_e32 v1, v1, v4
	v_xor_b32_e32 v4, 4, v2
	v_cmp_lt_i32_e64 s[0:1], v4, v3
	v_cndmask_b32_e64 v4, v2, v4, s[0:1]
	;; [unrolled: 7-line block ×4, first 2 shown]
	v_lshlrev_b32_e32 v2, 2, v2
	ds_bpermute_b32 v2, v2, v1
	s_mov_b32 s0, 0x800000
	s_waitcnt lgkmcnt(0)
	v_add_f32_e32 v1, v1, v2
	v_mov_b32_e32 v2, s16
	v_fmac_f32_e32 v2, 0x3b000000, v1
	v_mul_f32_e32 v1, 0x4b800000, v2
	v_cmp_gt_f32_e64 s[0:1], s0, v2
	v_cndmask_b32_e64 v1, v2, v1, s[0:1]
	v_rsq_f32_e32 v1, v1
	v_mul_f32_e32 v2, 0x45800000, v1
	v_cndmask_b32_e64 v2, v1, v2, s[0:1]
	v_pk_mul_f32 v[26:27], v[2:3], v[26:27] op_sel_hi:[0,1]
	v_pk_mul_f32 v[24:25], v[2:3], v[24:25] op_sel_hi:[0,1]
	;; [unrolled: 1-line block ×8, first 2 shown]
.LBB6_14:
	s_or_b64 exec, exec, s[2:3]
	v_cmp_gt_u32_e64 s[0:1], 28, v47
	v_cmp_lt_u32_e64 s[2:3], 27, v47
	s_and_saveexec_b64 s[16:17], s[2:3]
	s_cbranch_execz .LBB6_18
; %bb.15:
	v_lshlrev_b64 v[2:3], 3, v[10:11]
	s_waitcnt lgkmcnt(0)
	v_mov_b32_e32 v1, s13
	v_add_co_u32_e64 v2, s[2:3], s12, v2
	v_addc_co_u32_e64 v3, s[2:3], v1, v3, s[2:3]
	global_load_dwordx2 v[2:3], v[2:3], off
	v_add_u32_e32 v4, 0xfffffe40, v46
	v_mov_b32_e32 v1, s15
	v_mov_b32_e32 v5, 0
	v_lshrrev_b32_e32 v4, 1, v4
	v_lshlrev_b64 v[4:5], 2, v[4:5]
	s_waitcnt vmcnt(0)
	v_lshlrev_b64 v[2:3], 8, v[2:3]
	v_add_co_u32_e64 v2, s[2:3], s14, v2
	v_addc_co_u32_e64 v1, s[2:3], v1, v3, s[2:3]
	v_add_co_u32_e64 v28, s[2:3], v2, v4
	v_addc_co_u32_e64 v29, s[2:3], v1, v5, s[2:3]
	global_load_dwordx4 v[2:5], v[28:29], off offset:128
	global_load_dwordx4 v[6:9], v[28:29], off offset:144
	global_load_dwordx4 v[48:51], v[28:29], off
	global_load_dwordx4 v[52:55], v[28:29], off offset:16
	s_waitcnt vmcnt(3)
	v_mul_f32_e32 v1, v13, v2
	v_mul_f32_e32 v29, v12, v2
	;; [unrolled: 1-line block ×8, first 2 shown]
	s_waitcnt vmcnt(2)
	v_mul_f32_e32 v5, v21, v6
	v_mul_f32_e32 v37, v20, v6
	;; [unrolled: 1-line block ×8, first 2 shown]
	s_waitcnt vmcnt(1)
	v_fma_f32 v28, v12, v48, -v1
	v_fmac_f32_e32 v29, v13, v48
	v_fma_f32 v30, v14, v49, -v2
	v_fmac_f32_e32 v31, v15, v49
	;; [unrolled: 2-line block ×4, first 2 shown]
	s_waitcnt vmcnt(0)
	v_fma_f32 v36, v20, v52, -v5
	v_fmac_f32_e32 v37, v21, v52
	v_fma_f32 v38, v22, v53, -v6
	v_fmac_f32_e32 v39, v23, v53
	;; [unrolled: 2-line block ×4, first 2 shown]
	v_pk_mov_b32 v[12:13], v[28:29], v[28:29] op_sel:[0,1]
	v_pk_mov_b32 v[14:15], v[30:31], v[30:31] op_sel:[0,1]
	;; [unrolled: 1-line block ×8, first 2 shown]
	s_or_b64 exec, exec, s[16:17]
	s_and_saveexec_b64 s[2:3], vcc
	s_xor_b64 s[12:13], exec, s[2:3]
	s_cbranch_execnz .LBB6_19
.LBB6_16:
	s_andn2_saveexec_b64 s[0:1], s[12:13]
	s_cbranch_execnz .LBB6_353
.LBB6_17:
	s_or_b64 exec, exec, s[0:1]
                                        ; implicit-def: $vgpr10
                                        ; implicit-def: $vgpr44
                                        ; implicit-def: $vgpr46
	s_andn2_saveexec_b64 s[0:1], s[4:5]
	s_cbranch_execnz .LBB6_9
	s_branch .LBB6_10
.LBB6_18:
	s_or_b64 exec, exec, s[16:17]
	s_and_saveexec_b64 s[2:3], vcc
	s_waitcnt lgkmcnt(0)
	s_xor_b64 s[12:13], exec, s[2:3]
	s_cbranch_execz .LBB6_16
.LBB6_19:
	v_lshlrev_b64 v[2:3], 3, v[10:11]
	v_mov_b32_e32 v1, s11
	v_add_co_u32_e32 v2, vcc, s10, v2
	v_addc_co_u32_e32 v3, vcc, v1, v3, vcc
	global_load_dwordx2 v[30:31], v[2:3], off
	s_waitcnt vmcnt(0)
	v_cmp_lt_i64_e32 vcc, -1, v[30:31]
	s_and_saveexec_b64 s[10:11], vcc
                                        ; implicit-def: $vgpr11
	s_cbranch_execz .LBB6_352
; %bb.20:
	s_ashr_i32 s22, s20, 31
	v_or_b32_e32 v3, s22, v31
	v_mov_b32_e32 v2, 0
	v_cmp_ne_u64_e32 vcc, 0, v[2:3]
                                        ; implicit-def: $vgpr32_vgpr33
	s_and_saveexec_b64 s[2:3], vcc
	s_xor_b64 s[14:15], exec, s[2:3]
	s_cbranch_execz .LBB6_22
; %bb.21:
	s_add_u32 s2, s20, s22
	s_mov_b32 s16, s22
	s_mov_b32 s17, s22
	s_addc_u32 s3, s22, s22
	s_xor_b64 s[18:19], s[2:3], s[16:17]
	v_cvt_f32_u32_e32 v1, s18
	v_cvt_f32_u32_e32 v2, s19
	s_sub_u32 s2, 0, s18
	s_subb_u32 s3, 0, s19
	v_madmk_f32 v1, v2, 0x4f800000, v1
	v_rcp_f32_e32 v1, v1
	v_mul_f32_e32 v1, 0x5f7ffffc, v1
	v_mul_f32_e32 v2, 0x2f800000, v1
	v_trunc_f32_e32 v2, v2
	v_madmk_f32 v1, v2, 0xcf800000, v1
	v_cvt_u32_f32_e32 v2, v2
	v_cvt_u32_f32_e32 v1, v1
	v_mul_lo_u32 v3, s2, v2
	v_mul_hi_u32 v5, s2, v1
	v_mul_lo_u32 v4, s3, v1
	v_add_u32_e32 v3, v5, v3
	v_mul_lo_u32 v6, s2, v1
	v_add_u32_e32 v3, v3, v4
	v_mul_lo_u32 v5, v1, v3
	v_mul_hi_u32 v7, v1, v6
	v_mul_hi_u32 v4, v1, v3
	v_add_co_u32_e32 v5, vcc, v7, v5
	v_addc_co_u32_e32 v4, vcc, 0, v4, vcc
	v_mul_hi_u32 v8, v2, v6
	v_mul_lo_u32 v6, v2, v6
	v_add_co_u32_e32 v5, vcc, v5, v6
	v_mul_hi_u32 v7, v2, v3
	v_addc_co_u32_e32 v4, vcc, v4, v8, vcc
	v_addc_co_u32_e32 v5, vcc, 0, v7, vcc
	v_mul_lo_u32 v3, v2, v3
	v_add_co_u32_e32 v3, vcc, v4, v3
	v_addc_co_u32_e32 v4, vcc, 0, v5, vcc
	v_add_co_u32_e32 v1, vcc, v1, v3
	v_addc_co_u32_e32 v2, vcc, v2, v4, vcc
	v_mul_lo_u32 v3, s2, v2
	v_mul_hi_u32 v4, s2, v1
	v_add_u32_e32 v3, v4, v3
	v_mul_lo_u32 v4, s3, v1
	v_add_u32_e32 v3, v3, v4
	v_mul_lo_u32 v5, s2, v1
	v_mul_hi_u32 v6, v2, v5
	v_mul_lo_u32 v7, v2, v5
	v_mul_lo_u32 v9, v1, v3
	v_mul_hi_u32 v5, v1, v5
	v_mul_hi_u32 v8, v1, v3
	v_add_co_u32_e32 v5, vcc, v5, v9
	v_addc_co_u32_e32 v8, vcc, 0, v8, vcc
	v_add_co_u32_e32 v5, vcc, v5, v7
	v_mul_hi_u32 v4, v2, v3
	v_addc_co_u32_e32 v5, vcc, v8, v6, vcc
	v_addc_co_u32_e32 v4, vcc, 0, v4, vcc
	v_mul_lo_u32 v3, v2, v3
	v_add_co_u32_e32 v3, vcc, v5, v3
	v_addc_co_u32_e32 v4, vcc, 0, v4, vcc
	v_add_co_u32_e32 v1, vcc, v1, v3
	v_addc_co_u32_e32 v4, vcc, v2, v4, vcc
	v_ashrrev_i32_e32 v6, 31, v31
	v_add_co_u32_e32 v2, vcc, v30, v6
	v_addc_co_u32_e32 v3, vcc, v31, v6, vcc
	v_xor_b32_e32 v8, v2, v6
	v_xor_b32_e32 v7, v3, v6
	v_mad_u64_u32 v[2:3], s[2:3], v8, v4, 0
	v_mul_hi_u32 v5, v8, v1
	v_add_co_u32_e32 v9, vcc, v5, v2
	v_addc_co_u32_e32 v10, vcc, 0, v3, vcc
	v_mad_u64_u32 v[2:3], s[2:3], v7, v4, 0
	v_mad_u64_u32 v[4:5], s[2:3], v7, v1, 0
	v_add_co_u32_e32 v1, vcc, v9, v4
	v_addc_co_u32_e32 v1, vcc, v10, v5, vcc
	v_addc_co_u32_e32 v3, vcc, 0, v3, vcc
	v_add_co_u32_e32 v1, vcc, v1, v2
	v_addc_co_u32_e32 v4, vcc, 0, v3, vcc
	v_mul_lo_u32 v5, s19, v1
	v_mul_lo_u32 v9, s18, v4
	v_mad_u64_u32 v[2:3], s[2:3], s18, v1, 0
	v_add3_u32 v3, v3, v9, v5
	v_sub_u32_e32 v5, v7, v3
	v_mov_b32_e32 v9, s19
	v_sub_co_u32_e32 v2, vcc, v8, v2
	v_subb_co_u32_e64 v5, s[2:3], v5, v9, vcc
	v_subrev_co_u32_e64 v8, s[2:3], s18, v2
	v_subbrev_co_u32_e64 v5, s[2:3], 0, v5, s[2:3]
	v_cmp_le_u32_e64 s[2:3], s19, v5
	v_cndmask_b32_e64 v9, 0, -1, s[2:3]
	v_cmp_le_u32_e64 s[2:3], s18, v8
	v_cndmask_b32_e64 v8, 0, -1, s[2:3]
	v_cmp_eq_u32_e64 s[2:3], s19, v5
	v_cndmask_b32_e64 v5, v9, v8, s[2:3]
	v_add_co_u32_e64 v8, s[2:3], 2, v1
	v_subb_co_u32_e32 v3, vcc, v7, v3, vcc
	v_addc_co_u32_e64 v9, s[2:3], 0, v4, s[2:3]
	v_cmp_le_u32_e32 vcc, s19, v3
	v_add_co_u32_e64 v10, s[2:3], 1, v1
	v_cndmask_b32_e64 v7, 0, -1, vcc
	v_cmp_le_u32_e32 vcc, s18, v2
	v_addc_co_u32_e64 v11, s[2:3], 0, v4, s[2:3]
	v_cndmask_b32_e64 v2, 0, -1, vcc
	v_cmp_eq_u32_e32 vcc, s19, v3
	v_cmp_ne_u32_e64 s[2:3], 0, v5
	v_cndmask_b32_e32 v2, v7, v2, vcc
	v_cndmask_b32_e64 v5, v11, v9, s[2:3]
	v_cmp_ne_u32_e32 vcc, 0, v2
	v_cndmask_b32_e64 v3, v10, v8, s[2:3]
	v_cndmask_b32_e32 v2, v4, v5, vcc
	v_cndmask_b32_e32 v1, v1, v3, vcc
	v_xor_b32_e32 v4, s16, v6
	v_xor_b32_e32 v3, s17, v6
	;; [unrolled: 1-line block ×4, first 2 shown]
	v_sub_co_u32_e32 v32, vcc, v1, v4
	v_subb_co_u32_e32 v33, vcc, v2, v3, vcc
.LBB6_22:
	s_andn2_saveexec_b64 s[2:3], s[14:15]
	s_cbranch_execz .LBB6_24
; %bb.23:
	v_cvt_f32_u32_e32 v1, s20
	s_sub_i32 s14, 0, s20
	v_mov_b32_e32 v33, 0
	v_rcp_iflag_f32_e32 v1, v1
	v_mul_f32_e32 v1, 0x4f7ffffe, v1
	v_cvt_u32_f32_e32 v1, v1
	v_mul_lo_u32 v2, s14, v1
	v_mul_hi_u32 v2, v1, v2
	v_add_u32_e32 v1, v1, v2
	v_mul_hi_u32 v1, v30, v1
	v_mul_lo_u32 v2, v1, s20
	v_sub_u32_e32 v2, v30, v2
	v_add_u32_e32 v3, 1, v1
	v_subrev_u32_e32 v4, s20, v2
	v_cmp_le_u32_e32 vcc, s20, v2
	v_cndmask_b32_e32 v2, v2, v4, vcc
	v_cndmask_b32_e32 v1, v1, v3, vcc
	v_add_u32_e32 v3, 1, v1
	v_cmp_le_u32_e32 vcc, s20, v2
	v_cndmask_b32_e32 v32, v1, v3, vcc
.LBB6_24:
	s_or_b64 exec, exec, s[2:3]
	s_mov_b32 s2, 0x7f800000
	v_and_b32_e32 v1, 0x7f800000, v12
	v_cmp_ne_u32_e32 vcc, s2, v1
                                        ; implicit-def: $vgpr29
	s_and_saveexec_b64 s[2:3], vcc
	s_xor_b64 s[2:3], exec, s[2:3]
; %bb.25:
	v_bfe_u32 v1, v12, 16, 1
	s_movk_i32 s14, 0x7fff
	v_add3_u32 v29, v12, v1, s14
; %bb.26:
	s_andn2_saveexec_b64 s[2:3], s[2:3]
; %bb.27:
	v_mov_b32_e32 v1, 0
	v_or_b32_e32 v2, 0x10000, v12
	v_cmp_eq_u32_sdwa vcc, v12, v1 src0_sel:WORD_0 src1_sel:DWORD
	v_cndmask_b32_e32 v29, v2, v12, vcc
; %bb.28:
	s_or_b64 exec, exec, s[2:3]
	s_mov_b32 s2, 0x7f800000
	v_and_b32_e32 v1, 0x7f800000, v13
	v_and_b32_e32 v28, 0xffff0000, v29
	v_cmp_ne_u32_e32 vcc, s2, v1
                                        ; implicit-def: $vgpr34
	s_and_saveexec_b64 s[2:3], vcc
	s_xor_b64 s[2:3], exec, s[2:3]
; %bb.29:
	v_bfe_u32 v1, v13, 16, 1
	s_movk_i32 s14, 0x7fff
	v_add3_u32 v34, v13, v1, s14
; %bb.30:
	s_andn2_saveexec_b64 s[2:3], s[2:3]
; %bb.31:
	v_mov_b32_e32 v1, 0
	v_or_b32_e32 v2, 0x10000, v13
	v_cmp_eq_u32_sdwa vcc, v13, v1 src0_sel:WORD_0 src1_sel:DWORD
	v_cndmask_b32_e32 v34, v2, v13, vcc
; %bb.32:
	s_or_b64 exec, exec, s[2:3]
	s_mov_b32 s2, 0x7f800000
	v_and_b32_e32 v2, 0x7f800000, v14
	v_and_b32_e32 v1, 0xffff0000, v34
	v_cmp_ne_u32_e32 vcc, s2, v2
                                        ; implicit-def: $vgpr35
	s_and_saveexec_b64 s[2:3], vcc
	s_xor_b64 s[2:3], exec, s[2:3]
; %bb.33:
	v_bfe_u32 v2, v14, 16, 1
	s_movk_i32 s14, 0x7fff
	v_add3_u32 v35, v14, v2, s14
; %bb.34:
	s_andn2_saveexec_b64 s[2:3], s[2:3]
; %bb.35:
	v_mov_b32_e32 v2, 0
	v_or_b32_e32 v3, 0x10000, v14
	v_cmp_eq_u32_sdwa vcc, v14, v2 src0_sel:WORD_0 src1_sel:DWORD
	v_cndmask_b32_e32 v35, v3, v14, vcc
; %bb.36:
	s_or_b64 exec, exec, s[2:3]
	s_mov_b32 s2, 0x7f800000
	v_and_b32_e32 v3, 0x7f800000, v15
	v_and_b32_e32 v2, 0xffff0000, v35
	v_cmp_ne_u32_e32 vcc, s2, v3
                                        ; implicit-def: $vgpr36
	s_and_saveexec_b64 s[2:3], vcc
	s_xor_b64 s[2:3], exec, s[2:3]
; %bb.37:
	v_bfe_u32 v3, v15, 16, 1
	s_movk_i32 s14, 0x7fff
	v_add3_u32 v36, v15, v3, s14
; %bb.38:
	s_andn2_saveexec_b64 s[2:3], s[2:3]
; %bb.39:
	v_mov_b32_e32 v3, 0
	v_or_b32_e32 v4, 0x10000, v15
	v_cmp_eq_u32_sdwa vcc, v15, v3 src0_sel:WORD_0 src1_sel:DWORD
	v_cndmask_b32_e32 v36, v4, v15, vcc
; %bb.40:
	s_or_b64 exec, exec, s[2:3]
	s_mov_b32 s2, 0x7f800000
	v_and_b32_e32 v4, 0x7f800000, v16
	v_and_b32_e32 v3, 0xffff0000, v36
	v_cmp_ne_u32_e32 vcc, s2, v4
                                        ; implicit-def: $vgpr37
	s_and_saveexec_b64 s[2:3], vcc
	s_xor_b64 s[2:3], exec, s[2:3]
; %bb.41:
	v_bfe_u32 v4, v16, 16, 1
	s_movk_i32 s14, 0x7fff
	v_add3_u32 v37, v16, v4, s14
; %bb.42:
	s_andn2_saveexec_b64 s[2:3], s[2:3]
; %bb.43:
	v_mov_b32_e32 v4, 0
	v_or_b32_e32 v5, 0x10000, v16
	v_cmp_eq_u32_sdwa vcc, v16, v4 src0_sel:WORD_0 src1_sel:DWORD
	v_cndmask_b32_e32 v37, v5, v16, vcc
; %bb.44:
	s_or_b64 exec, exec, s[2:3]
	s_mov_b32 s2, 0x7f800000
	v_and_b32_e32 v5, 0x7f800000, v17
	v_and_b32_e32 v4, 0xffff0000, v37
	v_cmp_ne_u32_e32 vcc, s2, v5
                                        ; implicit-def: $vgpr38
	s_and_saveexec_b64 s[2:3], vcc
	s_xor_b64 s[2:3], exec, s[2:3]
; %bb.45:
	v_bfe_u32 v5, v17, 16, 1
	s_movk_i32 s14, 0x7fff
	v_add3_u32 v38, v17, v5, s14
; %bb.46:
	s_andn2_saveexec_b64 s[2:3], s[2:3]
; %bb.47:
	v_mov_b32_e32 v5, 0
	v_or_b32_e32 v6, 0x10000, v17
	v_cmp_eq_u32_sdwa vcc, v17, v5 src0_sel:WORD_0 src1_sel:DWORD
	v_cndmask_b32_e32 v38, v6, v17, vcc
; %bb.48:
	s_or_b64 exec, exec, s[2:3]
	s_mov_b32 s2, 0x7f800000
	v_and_b32_e32 v6, 0x7f800000, v18
	v_and_b32_e32 v5, 0xffff0000, v38
	v_cmp_ne_u32_e32 vcc, s2, v6
                                        ; implicit-def: $vgpr39
	s_and_saveexec_b64 s[2:3], vcc
	s_xor_b64 s[2:3], exec, s[2:3]
; %bb.49:
	v_bfe_u32 v6, v18, 16, 1
	s_movk_i32 s14, 0x7fff
	v_add3_u32 v39, v18, v6, s14
; %bb.50:
	s_andn2_saveexec_b64 s[2:3], s[2:3]
; %bb.51:
	v_mov_b32_e32 v6, 0
	v_or_b32_e32 v7, 0x10000, v18
	v_cmp_eq_u32_sdwa vcc, v18, v6 src0_sel:WORD_0 src1_sel:DWORD
	v_cndmask_b32_e32 v39, v7, v18, vcc
; %bb.52:
	s_or_b64 exec, exec, s[2:3]
	s_mov_b32 s2, 0x7f800000
	v_and_b32_e32 v7, 0x7f800000, v19
	v_and_b32_e32 v6, 0xffff0000, v39
	v_cmp_ne_u32_e32 vcc, s2, v7
                                        ; implicit-def: $vgpr40
	s_and_saveexec_b64 s[2:3], vcc
	s_xor_b64 s[2:3], exec, s[2:3]
; %bb.53:
	v_bfe_u32 v7, v19, 16, 1
	s_movk_i32 s14, 0x7fff
	v_add3_u32 v40, v19, v7, s14
; %bb.54:
	s_andn2_saveexec_b64 s[2:3], s[2:3]
; %bb.55:
	v_mov_b32_e32 v7, 0
	v_or_b32_e32 v8, 0x10000, v19
	v_cmp_eq_u32_sdwa vcc, v19, v7 src0_sel:WORD_0 src1_sel:DWORD
	v_cndmask_b32_e32 v40, v8, v19, vcc
; %bb.56:
	s_or_b64 exec, exec, s[2:3]
	s_mov_b32 s2, 0x7f800000
	v_and_b32_e32 v8, 0x7f800000, v20
	v_and_b32_e32 v7, 0xffff0000, v40
	v_cmp_ne_u32_e32 vcc, s2, v8
                                        ; implicit-def: $vgpr41
	s_and_saveexec_b64 s[2:3], vcc
	s_xor_b64 s[2:3], exec, s[2:3]
; %bb.57:
	v_bfe_u32 v8, v20, 16, 1
	s_movk_i32 s14, 0x7fff
	v_add3_u32 v41, v20, v8, s14
; %bb.58:
	s_andn2_saveexec_b64 s[2:3], s[2:3]
; %bb.59:
	v_mov_b32_e32 v8, 0
	v_or_b32_e32 v9, 0x10000, v20
	v_cmp_eq_u32_sdwa vcc, v20, v8 src0_sel:WORD_0 src1_sel:DWORD
	v_cndmask_b32_e32 v41, v9, v20, vcc
; %bb.60:
	s_or_b64 exec, exec, s[2:3]
	s_mov_b32 s2, 0x7f800000
	v_and_b32_e32 v9, 0x7f800000, v21
	v_and_b32_e32 v8, 0xffff0000, v41
	v_cmp_ne_u32_e32 vcc, s2, v9
                                        ; implicit-def: $vgpr42
	s_and_saveexec_b64 s[2:3], vcc
	s_xor_b64 s[2:3], exec, s[2:3]
; %bb.61:
	v_bfe_u32 v9, v21, 16, 1
	s_movk_i32 s14, 0x7fff
	v_add3_u32 v42, v21, v9, s14
; %bb.62:
	s_andn2_saveexec_b64 s[2:3], s[2:3]
; %bb.63:
	v_mov_b32_e32 v9, 0
	v_or_b32_e32 v10, 0x10000, v21
	v_cmp_eq_u32_sdwa vcc, v21, v9 src0_sel:WORD_0 src1_sel:DWORD
	v_cndmask_b32_e32 v42, v10, v21, vcc
; %bb.64:
	s_or_b64 exec, exec, s[2:3]
	s_mov_b32 s2, 0x7f800000
	v_and_b32_e32 v10, 0x7f800000, v22
	v_and_b32_e32 v9, 0xffff0000, v42
	v_cmp_ne_u32_e32 vcc, s2, v10
                                        ; implicit-def: $vgpr43
	s_and_saveexec_b64 s[2:3], vcc
	s_xor_b64 s[2:3], exec, s[2:3]
; %bb.65:
	v_bfe_u32 v10, v22, 16, 1
	s_movk_i32 s14, 0x7fff
	v_add3_u32 v43, v22, v10, s14
; %bb.66:
	s_andn2_saveexec_b64 s[2:3], s[2:3]
; %bb.67:
	v_mov_b32_e32 v10, 0
	v_or_b32_e32 v11, 0x10000, v22
	v_cmp_eq_u32_sdwa vcc, v22, v10 src0_sel:WORD_0 src1_sel:DWORD
	v_cndmask_b32_e32 v43, v11, v22, vcc
; %bb.68:
	s_or_b64 exec, exec, s[2:3]
	s_mov_b32 s2, 0x7f800000
	v_and_b32_e32 v11, 0x7f800000, v23
	v_and_b32_e32 v10, 0xffff0000, v43
	v_cmp_ne_u32_e32 vcc, s2, v11
                                        ; implicit-def: $vgpr44
	s_and_saveexec_b64 s[2:3], vcc
	s_xor_b64 s[2:3], exec, s[2:3]
; %bb.69:
	v_bfe_u32 v11, v23, 16, 1
	s_movk_i32 s14, 0x7fff
	v_add3_u32 v44, v23, v11, s14
; %bb.70:
	s_andn2_saveexec_b64 s[2:3], s[2:3]
; %bb.71:
	v_mov_b32_e32 v11, 0
	v_or_b32_e32 v12, 0x10000, v23
	v_cmp_eq_u32_sdwa vcc, v23, v11 src0_sel:WORD_0 src1_sel:DWORD
	v_cndmask_b32_e32 v44, v12, v23, vcc
; %bb.72:
	s_or_b64 exec, exec, s[2:3]
	s_mov_b32 s2, 0x7f800000
	v_and_b32_e32 v12, 0x7f800000, v24
	v_and_b32_e32 v11, 0xffff0000, v44
	v_cmp_ne_u32_e32 vcc, s2, v12
                                        ; implicit-def: $vgpr45
	s_and_saveexec_b64 s[2:3], vcc
	s_xor_b64 s[2:3], exec, s[2:3]
; %bb.73:
	v_bfe_u32 v12, v24, 16, 1
	s_movk_i32 s14, 0x7fff
	v_add3_u32 v45, v24, v12, s14
; %bb.74:
	s_andn2_saveexec_b64 s[2:3], s[2:3]
; %bb.75:
	v_mov_b32_e32 v12, 0
	v_or_b32_e32 v13, 0x10000, v24
	v_cmp_eq_u32_sdwa vcc, v24, v12 src0_sel:WORD_0 src1_sel:DWORD
	v_cndmask_b32_e32 v45, v13, v24, vcc
; %bb.76:
	s_or_b64 exec, exec, s[2:3]
	s_mov_b32 s2, 0x7f800000
	v_and_b32_e32 v12, 0x7f800000, v25
	v_cmp_ne_u32_e32 vcc, s2, v12
                                        ; implicit-def: $vgpr48
	s_and_saveexec_b64 s[2:3], vcc
	s_xor_b64 s[2:3], exec, s[2:3]
; %bb.77:
	v_bfe_u32 v12, v25, 16, 1
	s_movk_i32 s14, 0x7fff
	v_add3_u32 v48, v25, v12, s14
; %bb.78:
	s_andn2_saveexec_b64 s[2:3], s[2:3]
; %bb.79:
	v_mov_b32_e32 v12, 0
	v_or_b32_e32 v13, 0x10000, v25
	v_cmp_eq_u32_sdwa vcc, v25, v12 src0_sel:WORD_0 src1_sel:DWORD
	v_cndmask_b32_e32 v48, v13, v25, vcc
; %bb.80:
	s_or_b64 exec, exec, s[2:3]
	s_mov_b32 s2, 0x7f800000
	v_and_b32_e32 v12, 0x7f800000, v26
	v_cmp_ne_u32_e32 vcc, s2, v12
                                        ; implicit-def: $vgpr49
	s_and_saveexec_b64 s[2:3], vcc
	s_xor_b64 s[2:3], exec, s[2:3]
; %bb.81:
	v_bfe_u32 v12, v26, 16, 1
	s_movk_i32 s14, 0x7fff
	v_add3_u32 v49, v26, v12, s14
; %bb.82:
	s_andn2_saveexec_b64 s[2:3], s[2:3]
; %bb.83:
	v_mov_b32_e32 v12, 0
	v_or_b32_e32 v13, 0x10000, v26
	v_cmp_eq_u32_sdwa vcc, v26, v12 src0_sel:WORD_0 src1_sel:DWORD
	v_cndmask_b32_e32 v49, v13, v26, vcc
; %bb.84:
	s_or_b64 exec, exec, s[2:3]
	s_mov_b32 s2, 0x7f800000
	v_and_b32_e32 v12, 0x7f800000, v27
	v_cmp_ne_u32_e32 vcc, s2, v12
                                        ; implicit-def: $vgpr50
	s_and_saveexec_b64 s[2:3], vcc
	s_xor_b64 s[2:3], exec, s[2:3]
; %bb.85:
	v_bfe_u32 v12, v27, 16, 1
	s_movk_i32 s14, 0x7fff
	v_add3_u32 v50, v27, v12, s14
                                        ; implicit-def: $vgpr12_vgpr13_vgpr14_vgpr15_vgpr16_vgpr17_vgpr18_vgpr19_vgpr20_vgpr21_vgpr22_vgpr23_vgpr24_vgpr25_vgpr26_vgpr27
; %bb.86:
	s_andn2_saveexec_b64 s[2:3], s[2:3]
; %bb.87:
	v_mov_b32_e32 v12, 0
	v_or_b32_e32 v13, 0x10000, v27
	v_cmp_eq_u32_sdwa vcc, v27, v12 src0_sel:WORD_0 src1_sel:DWORD
	v_cndmask_b32_e32 v50, v13, v27, vcc
; %bb.88:
	s_or_b64 exec, exec, s[2:3]
	v_mul_lo_u32 v14, v33, s20
	v_mul_lo_u32 v15, v32, s22
	v_mad_u64_u32 v[12:13], s[2:3], v32, s20, 0
	v_add3_u32 v13, v13, v15, v14
	v_sub_co_u32_e32 v14, vcc, v30, v12
	v_subb_co_u32_e32 v15, vcc, v31, v13, vcc
	s_ashr_i32 s14, s21, 31
	v_pk_mov_b32 v[12:13], s[8:9], s[8:9] op_sel:[0,1]
	v_mad_u64_u32 v[16:17], s[2:3], v32, s21, v[12:13]
	v_mul_lo_u32 v12, v33, s21
	v_mul_lo_u32 v13, v32, s14
	v_add3_u32 v17, v12, v17, v13
	s_movk_i32 s8, 0x240
	v_mad_u64_u32 v[12:13], s[2:3], v14, s8, v[16:17]
	v_mov_b32_e32 v18, v13
	v_mad_u64_u32 v[18:19], s[2:3], v15, s8, v[18:19]
	v_mov_b32_e32 v13, v18
	v_max3_f32 v18, |v28|, 0, |v1|
	v_max3_f32 v18, v18, |v2|, |v3|
	v_mbcnt_lo_u32_b32 v19, -1, 0
	v_max3_f32 v18, v18, |v4|, |v5|
	v_mbcnt_hi_u32_b32 v19, -1, v19
	v_max3_f32 v18, v18, |v6|, |v7|
	v_and_b32_e32 v20, 64, v19
	v_max3_f32 v18, v18, |v8|, |v9|
	v_add_u32_e32 v20, 64, v20
	v_xor_b32_e32 v21, 1, v19
	v_max3_f32 v18, v18, |v10|, |v11|
	v_and_b32_e32 v26, 0xffff0000, v48
	v_and_b32_e32 v27, 0xffff0000, v45
	v_cmp_lt_i32_e32 vcc, v21, v20
	v_max3_f32 v18, v18, |v27|, |v26|
	v_and_b32_e32 v24, 0xffff0000, v49
	v_and_b32_e32 v22, 0xffff0000, v50
	v_cndmask_b32_e32 v21, v19, v21, vcc
	v_max3_f32 v18, v18, |v24|, |v22|
	v_lshlrev_b32_e32 v21, 2, v21
	ds_bpermute_b32 v21, v21, v18
	s_waitcnt lgkmcnt(0)
	v_max_f32_e32 v21, v21, v21
	v_max_f32_e32 v18, v18, v21
	v_xor_b32_e32 v21, 2, v19
	v_cmp_lt_i32_e32 vcc, v21, v20
	v_cndmask_b32_e32 v19, v19, v21, vcc
	v_lshlrev_b32_e32 v19, 2, v19
	ds_bpermute_b32 v19, v19, v18
	s_and_saveexec_b64 s[2:3], s[0:1]
	s_xor_b64 s[2:3], exec, s[2:3]
	s_cbranch_execz .LBB6_350
; %bb.89:
	s_mov_b32 s0, 0x38d1b717
	s_waitcnt lgkmcnt(0)
	v_max3_f32 v18, v18, v19, s0
	s_mov_b32 s8, 0x43e00000
	v_div_scale_f32 v19, s[0:1], s8, s8, v18
	v_rcp_f32_e32 v20, v19
	s_mov_b32 s0, 0x800000
	v_fma_f32 v21, -v19, v20, 1.0
	v_fmac_f32_e32 v20, v21, v20
	v_div_scale_f32 v21, vcc, v18, s8, v18
	v_mul_f32_e32 v23, v21, v20
	v_fma_f32 v25, -v19, v23, v21
	v_fmac_f32_e32 v23, v25, v20
	v_fma_f32 v19, -v19, v23, v21
	v_div_fmas_f32 v19, v19, v20, v23
	v_div_fixup_f32 v18, v19, s8, v18
	v_mov_b32_e32 v19, 0x4f800000
	v_cmp_gt_f32_e32 vcc, s0, v18
	v_cndmask_b32_e32 v19, 1.0, v19, vcc
	v_mul_f32_e32 v18, v18, v19
	v_log_f32_e32 v18, v18
	v_mov_b32_e32 v19, 0x42000000
	v_cndmask_b32_e32 v19, 0, v19, vcc
	s_mov_b32 s0, 0x42fc0000
	v_sub_f32_e32 v18, v18, v19
	v_ceil_f32_e32 v20, v18
	v_mov_b32_e32 v18, 0x42800000
	v_cmp_lt_f32_e32 vcc, s0, v20
	v_cndmask_b32_e32 v18, 0, v18, vcc
	v_sub_f32_e32 v18, v18, v20
	v_exp_f32_e32 v18, v18
	v_mov_b32_e32 v19, 0x1f800000
	v_cndmask_b32_e32 v19, 1.0, v19, vcc
	s_movk_i32 s0, 0x80
	v_mul_f32_e32 v23, v18, v19
	v_mul_f32_e32 v18, v23, v28
	v_max_f32_e32 v18, 0xc3e00000, v18
	v_min_f32_e32 v28, 0x43e00000, v18
	v_mov_b32_e32 v19, 0
	v_and_b32_sdwa v25, v28, s0 dst_sel:DWORD dst_unused:UNUSED_PAD src0_sel:BYTE_3 src1_sel:DWORD
	v_and_b32_e32 v30, 0x7f800000, v28
	v_mov_b32_e32 v31, v19
	s_mov_b64 s[0:1], 0x7f800000
	v_and_b32_e32 v18, 0x7fffff, v28
	v_or_b32_e32 v21, 0x7e, v25
	v_cmp_ne_u64_e32 vcc, s[0:1], v[30:31]
	s_and_saveexec_b64 s[0:1], vcc
	s_xor_b64 s[8:9], exec, s[0:1]
	s_cbranch_execz .LBB6_103
; %bb.90:
	v_and_b32_e32 v30, 0x7fffffff, v28
	v_mov_b32_e32 v31, v19
	s_mov_b64 s[0:1], 0x43e00001
	v_cmp_gt_u64_e32 vcc, s[0:1], v[30:31]
	s_and_saveexec_b64 s[0:1], vcc
	s_xor_b64 s[14:15], exec, s[0:1]
	s_cbranch_execz .LBB6_102
; %bb.91:
	v_cmp_ne_u32_e32 vcc, 0, v28
	v_mov_b32_e32 v21, 0
	s_and_saveexec_b64 s[16:17], vcc
	s_cbranch_execz .LBB6_101
; %bb.92:
	v_bfe_u32 v21, v28, 23, 8
	s_movk_i32 s0, 0x7a
	v_sub_u32_e32 v29, 0x79, v21
	v_cmp_gt_u32_e32 vcc, s0, v21
	v_add_u32_e32 v28, 0xffffff81, v21
	v_cndmask_b32_e32 v29, 0, v29, vcc
	v_mov_b32_e32 v31, 0xffffff82
	v_cmp_eq_u32_e32 vcc, 0, v21
	v_cndmask_b32_e32 v21, v28, v31, vcc
	v_mov_b32_e32 v28, 0x78
	v_cndmask_b32_e32 v34, v29, v28, vcc
	v_add_u32_e32 v28, 20, v34
	v_or_b32_e32 v30, 0x800000, v18
	v_lshlrev_b64 v[28:29], v28, -1
	v_cndmask_b32_e32 v18, v30, v18, vcc
	v_not_b32_e32 v28, v28
	v_and_b32_e32 v30, v18, v28
	v_add_u32_e32 v28, 19, v34
	v_lshrrev_b64 v[18:19], v34, v[18:19]
	v_not_b32_e32 v29, v29
	v_lshlrev_b64 v[32:33], v28, 1
	v_lshrrev_b32_e32 v28, 23, v18
	v_and_b32_e32 v31, 0, v29
	v_add3_u32 v29, v34, v21, v28
	v_bfe_u32 v28, v18, 20, 1
	v_add_u32_e32 v28, -1, v28
	v_cmp_eq_u64_e32 vcc, v[30:31], v[32:33]
	v_cndmask_b32_e32 v28, 0, v28, vcc
	v_add_u32_e32 v28, v28, v18
	v_and_b32_e32 v28, 0xfffff, v28
	v_add_co_u32_e32 v18, vcc, v28, v18
	v_add_u32_e32 v21, 6, v29
	v_addc_co_u32_e32 v19, vcc, 0, v19, vcc
	v_cmp_ne_u32_e32 vcc, 0, v21
                                        ; implicit-def: $vgpr28
	s_and_saveexec_b64 s[0:1], vcc
	s_xor_b64 s[0:1], exec, s[0:1]
; %bb.93:
	s_mov_b64 s[18:19], 0xffffff
	v_add_u32_e32 v28, 7, v29
	v_cmp_lt_u64_e32 vcc, s[18:19], v[18:19]
	v_cndmask_b32_e32 v28, v21, v28, vcc
	v_cndmask_b32_e64 v21, 0, 1, vcc
	v_lshrrev_b64 v[18:19], v21, v[18:19]
; %bb.94:
	s_andn2_saveexec_b64 s[0:1], s[0:1]
; %bb.95:
	v_bfe_u32 v28, v18, 23, 1
; %bb.96:
	s_or_b64 exec, exec, s[0:1]
	v_lshrrev_b64 v[18:19], 20, v[18:19]
	v_cmp_gt_i32_e32 vcc, 16, v28
	v_cndmask_b32_e32 v19, 0, v19, vcc
	v_cndmask_b32_e32 v18, 7, v18, vcc
	v_cmp_ne_u32_e32 vcc, 0, v28
	v_cmp_ne_u64_e64 s[0:1], 0, v[18:19]
	s_or_b64 s[0:1], vcc, s[0:1]
                                        ; implicit-def: $vgpr21
	s_and_saveexec_b64 s[18:19], s[0:1]
	s_xor_b64 s[0:1], exec, s[18:19]
; %bb.97:
	v_min_i32_e32 v19, 15, v28
	v_lshl_or_b32 v19, v19, 3, v25
	v_and_or_b32 v21, v18, 7, v19
                                        ; implicit-def: $vgpr25
; %bb.98:
	s_andn2_saveexec_b64 s[0:1], s[0:1]
; %bb.99:
	v_mov_b32_e32 v21, v25
; %bb.100:
	s_or_b64 exec, exec, s[0:1]
.LBB6_101:
	s_or_b64 exec, exec, s[16:17]
.LBB6_102:
	s_andn2_saveexec_b64 s[0:1], s[14:15]
	s_or_b64 exec, exec, s[0:1]
                                        ; implicit-def: $vgpr28
                                        ; implicit-def: $vgpr18_vgpr19
.LBB6_103:
	s_andn2_saveexec_b64 s[0:1], s[8:9]
; %bb.104:
	s_movk_i32 s8, 0x7f
	v_or_b32_sdwa v25, v28, s8 dst_sel:DWORD dst_unused:UNUSED_PAD src0_sel:BYTE_3 src1_sel:DWORD
	v_cmp_eq_u64_e32 vcc, 0, v[18:19]
	v_cndmask_b32_e32 v21, v25, v21, vcc
; %bb.105:
	s_or_b64 exec, exec, s[0:1]
	v_mul_f32_e32 v1, v23, v1
	v_max_f32_e32 v1, 0xc3e00000, v1
	v_min_f32_e32 v28, 0x43e00000, v1
	v_mov_b32_e32 v19, 0
	s_movk_i32 s0, 0x80
	v_and_b32_sdwa v25, v28, s0 dst_sel:DWORD dst_unused:UNUSED_PAD src0_sel:BYTE_3 src1_sel:DWORD
	v_and_b32_e32 v30, 0x7f800000, v28
	v_mov_b32_e32 v31, v19
	s_mov_b64 s[0:1], 0x7f800000
	v_and_b32_e32 v18, 0x7fffff, v28
	v_or_b32_e32 v1, 0x7e, v25
	v_cmp_ne_u64_e32 vcc, s[0:1], v[30:31]
	s_and_saveexec_b64 s[0:1], vcc
	s_xor_b64 s[8:9], exec, s[0:1]
	s_cbranch_execz .LBB6_119
; %bb.106:
	v_and_b32_e32 v30, 0x7fffffff, v28
	v_mov_b32_e32 v31, v19
	s_mov_b64 s[0:1], 0x43e00001
	v_cmp_gt_u64_e32 vcc, s[0:1], v[30:31]
	s_and_saveexec_b64 s[0:1], vcc
	s_xor_b64 s[14:15], exec, s[0:1]
	s_cbranch_execz .LBB6_118
; %bb.107:
	v_cmp_ne_u32_e32 vcc, 0, v28
	v_mov_b32_e32 v1, 0
	s_and_saveexec_b64 s[16:17], vcc
	s_cbranch_execz .LBB6_117
; %bb.108:
	v_bfe_u32 v1, v28, 23, 8
	s_movk_i32 s0, 0x7a
	v_sub_u32_e32 v29, 0x79, v1
	v_cmp_gt_u32_e32 vcc, s0, v1
	v_add_u32_e32 v28, 0xffffff81, v1
	v_cndmask_b32_e32 v29, 0, v29, vcc
	v_mov_b32_e32 v31, 0xffffff82
	v_cmp_eq_u32_e32 vcc, 0, v1
	v_cndmask_b32_e32 v1, v28, v31, vcc
	v_mov_b32_e32 v28, 0x78
	v_cndmask_b32_e32 v34, v29, v28, vcc
	v_add_u32_e32 v28, 20, v34
	v_or_b32_e32 v30, 0x800000, v18
	v_lshlrev_b64 v[28:29], v28, -1
	v_cndmask_b32_e32 v18, v30, v18, vcc
	v_not_b32_e32 v28, v28
	v_and_b32_e32 v30, v18, v28
	v_add_u32_e32 v28, 19, v34
	v_lshrrev_b64 v[18:19], v34, v[18:19]
	v_not_b32_e32 v29, v29
	v_lshlrev_b64 v[32:33], v28, 1
	v_lshrrev_b32_e32 v28, 23, v18
	v_and_b32_e32 v31, 0, v29
	v_add3_u32 v29, v34, v1, v28
	v_bfe_u32 v28, v18, 20, 1
	v_add_u32_e32 v28, -1, v28
	v_cmp_eq_u64_e32 vcc, v[30:31], v[32:33]
	v_cndmask_b32_e32 v28, 0, v28, vcc
	v_add_u32_e32 v28, v28, v18
	v_and_b32_e32 v28, 0xfffff, v28
	v_add_co_u32_e32 v18, vcc, v28, v18
	v_add_u32_e32 v1, 6, v29
	v_addc_co_u32_e32 v19, vcc, 0, v19, vcc
	v_cmp_ne_u32_e32 vcc, 0, v1
                                        ; implicit-def: $vgpr28
	s_and_saveexec_b64 s[0:1], vcc
	s_xor_b64 s[0:1], exec, s[0:1]
; %bb.109:
	s_mov_b64 s[18:19], 0xffffff
	v_add_u32_e32 v28, 7, v29
	v_cmp_lt_u64_e32 vcc, s[18:19], v[18:19]
	v_cndmask_b32_e32 v28, v1, v28, vcc
	v_cndmask_b32_e64 v1, 0, 1, vcc
	v_lshrrev_b64 v[18:19], v1, v[18:19]
; %bb.110:
	s_andn2_saveexec_b64 s[0:1], s[0:1]
; %bb.111:
	v_bfe_u32 v28, v18, 23, 1
; %bb.112:
	s_or_b64 exec, exec, s[0:1]
	v_lshrrev_b64 v[18:19], 20, v[18:19]
	v_cmp_gt_i32_e32 vcc, 16, v28
	v_cndmask_b32_e32 v19, 0, v19, vcc
	v_cndmask_b32_e32 v18, 7, v18, vcc
	v_cmp_ne_u32_e32 vcc, 0, v28
	v_cmp_ne_u64_e64 s[0:1], 0, v[18:19]
	s_or_b64 s[0:1], vcc, s[0:1]
                                        ; implicit-def: $vgpr1
	s_and_saveexec_b64 s[18:19], s[0:1]
	s_xor_b64 s[0:1], exec, s[18:19]
; %bb.113:
	v_min_i32_e32 v1, 15, v28
	v_lshl_or_b32 v1, v1, 3, v25
	v_and_or_b32 v1, v18, 7, v1
                                        ; implicit-def: $vgpr25
; %bb.114:
	s_andn2_saveexec_b64 s[0:1], s[0:1]
; %bb.115:
	v_mov_b32_e32 v1, v25
; %bb.116:
	s_or_b64 exec, exec, s[0:1]
.LBB6_117:
	s_or_b64 exec, exec, s[16:17]
.LBB6_118:
	s_andn2_saveexec_b64 s[0:1], s[14:15]
	s_or_b64 exec, exec, s[0:1]
                                        ; implicit-def: $vgpr28
                                        ; implicit-def: $vgpr18_vgpr19
.LBB6_119:
	s_andn2_saveexec_b64 s[0:1], s[8:9]
; %bb.120:
	s_movk_i32 s8, 0x7f
	v_or_b32_sdwa v25, v28, s8 dst_sel:DWORD dst_unused:UNUSED_PAD src0_sel:BYTE_3 src1_sel:DWORD
	v_cmp_eq_u64_e32 vcc, 0, v[18:19]
	v_cndmask_b32_e32 v1, v25, v1, vcc
; %bb.121:
	s_or_b64 exec, exec, s[0:1]
	v_mul_f32_e32 v2, v23, v2
	v_max_f32_e32 v2, 0xc3e00000, v2
	v_min_f32_e32 v28, 0x43e00000, v2
	v_mov_b32_e32 v19, 0
	s_movk_i32 s0, 0x80
	v_and_b32_sdwa v2, v28, s0 dst_sel:DWORD dst_unused:UNUSED_PAD src0_sel:BYTE_3 src1_sel:DWORD
	v_and_b32_e32 v30, 0x7f800000, v28
	v_mov_b32_e32 v31, v19
	s_mov_b64 s[0:1], 0x7f800000
	v_and_b32_e32 v18, 0x7fffff, v28
	v_or_b32_e32 v25, 0x7e, v2
	v_cmp_ne_u64_e32 vcc, s[0:1], v[30:31]
	s_and_saveexec_b64 s[0:1], vcc
	s_xor_b64 s[8:9], exec, s[0:1]
	s_cbranch_execz .LBB6_135
; %bb.122:
	v_and_b32_e32 v30, 0x7fffffff, v28
	v_mov_b32_e32 v31, v19
	s_mov_b64 s[0:1], 0x43e00001
	v_cmp_gt_u64_e32 vcc, s[0:1], v[30:31]
	s_and_saveexec_b64 s[0:1], vcc
	s_xor_b64 s[14:15], exec, s[0:1]
	s_cbranch_execz .LBB6_134
; %bb.123:
	v_cmp_ne_u32_e32 vcc, 0, v28
	v_mov_b32_e32 v25, 0
	s_and_saveexec_b64 s[16:17], vcc
	s_cbranch_execz .LBB6_133
; %bb.124:
	v_bfe_u32 v25, v28, 23, 8
	s_movk_i32 s0, 0x7a
	v_sub_u32_e32 v29, 0x79, v25
	v_cmp_gt_u32_e32 vcc, s0, v25
	v_add_u32_e32 v28, 0xffffff81, v25
	v_cndmask_b32_e32 v29, 0, v29, vcc
	v_mov_b32_e32 v31, 0xffffff82
	v_cmp_eq_u32_e32 vcc, 0, v25
	v_cndmask_b32_e32 v25, v28, v31, vcc
	v_mov_b32_e32 v28, 0x78
	v_cndmask_b32_e32 v34, v29, v28, vcc
	v_add_u32_e32 v28, 20, v34
	v_or_b32_e32 v30, 0x800000, v18
	v_lshlrev_b64 v[28:29], v28, -1
	v_cndmask_b32_e32 v18, v30, v18, vcc
	v_not_b32_e32 v28, v28
	v_and_b32_e32 v30, v18, v28
	v_add_u32_e32 v28, 19, v34
	v_lshrrev_b64 v[18:19], v34, v[18:19]
	v_not_b32_e32 v29, v29
	v_lshlrev_b64 v[32:33], v28, 1
	v_lshrrev_b32_e32 v28, 23, v18
	v_and_b32_e32 v31, 0, v29
	v_add3_u32 v29, v34, v25, v28
	v_bfe_u32 v28, v18, 20, 1
	v_add_u32_e32 v28, -1, v28
	v_cmp_eq_u64_e32 vcc, v[30:31], v[32:33]
	v_cndmask_b32_e32 v28, 0, v28, vcc
	v_add_u32_e32 v28, v28, v18
	v_and_b32_e32 v28, 0xfffff, v28
	v_add_co_u32_e32 v18, vcc, v28, v18
	v_add_u32_e32 v25, 6, v29
	v_addc_co_u32_e32 v19, vcc, 0, v19, vcc
	v_cmp_ne_u32_e32 vcc, 0, v25
                                        ; implicit-def: $vgpr28
	s_and_saveexec_b64 s[0:1], vcc
	s_xor_b64 s[0:1], exec, s[0:1]
; %bb.125:
	s_mov_b64 s[18:19], 0xffffff
	v_add_u32_e32 v28, 7, v29
	v_cmp_lt_u64_e32 vcc, s[18:19], v[18:19]
	v_cndmask_b32_e32 v28, v25, v28, vcc
	v_cndmask_b32_e64 v25, 0, 1, vcc
	v_lshrrev_b64 v[18:19], v25, v[18:19]
; %bb.126:
	s_andn2_saveexec_b64 s[0:1], s[0:1]
; %bb.127:
	v_bfe_u32 v28, v18, 23, 1
; %bb.128:
	s_or_b64 exec, exec, s[0:1]
	v_lshrrev_b64 v[18:19], 20, v[18:19]
	v_cmp_gt_i32_e32 vcc, 16, v28
	v_cndmask_b32_e32 v19, 0, v19, vcc
	v_cndmask_b32_e32 v18, 7, v18, vcc
	v_cmp_ne_u32_e32 vcc, 0, v28
	v_cmp_ne_u64_e64 s[0:1], 0, v[18:19]
	s_or_b64 s[0:1], vcc, s[0:1]
                                        ; implicit-def: $vgpr25
	s_and_saveexec_b64 s[18:19], s[0:1]
	s_xor_b64 s[0:1], exec, s[18:19]
; %bb.129:
	v_min_i32_e32 v19, 15, v28
	v_lshl_or_b32 v2, v19, 3, v2
	v_and_or_b32 v25, v18, 7, v2
                                        ; implicit-def: $vgpr2
; %bb.130:
	s_andn2_saveexec_b64 s[0:1], s[0:1]
; %bb.131:
	v_mov_b32_e32 v25, v2
; %bb.132:
	s_or_b64 exec, exec, s[0:1]
.LBB6_133:
	s_or_b64 exec, exec, s[16:17]
.LBB6_134:
	s_andn2_saveexec_b64 s[0:1], s[14:15]
	s_or_b64 exec, exec, s[0:1]
                                        ; implicit-def: $vgpr28
                                        ; implicit-def: $vgpr18_vgpr19
.LBB6_135:
	s_andn2_saveexec_b64 s[0:1], s[8:9]
; %bb.136:
	s_movk_i32 s8, 0x7f
	v_or_b32_sdwa v2, v28, s8 dst_sel:DWORD dst_unused:UNUSED_PAD src0_sel:BYTE_3 src1_sel:DWORD
	v_cmp_eq_u64_e32 vcc, 0, v[18:19]
	v_cndmask_b32_e32 v25, v2, v25, vcc
; %bb.137:
	s_or_b64 exec, exec, s[0:1]
	v_mul_f32_e32 v2, v23, v3
	v_max_f32_e32 v2, 0xc3e00000, v2
	v_min_f32_e32 v28, 0x43e00000, v2
	v_mov_b32_e32 v3, 0
	s_movk_i32 s0, 0x80
	v_and_b32_sdwa v19, v28, s0 dst_sel:DWORD dst_unused:UNUSED_PAD src0_sel:BYTE_3 src1_sel:DWORD
	v_and_b32_e32 v30, 0x7f800000, v28
	v_mov_b32_e32 v31, v3
	s_mov_b64 s[0:1], 0x7f800000
	v_and_b32_e32 v2, 0x7fffff, v28
	v_or_b32_e32 v18, 0x7e, v19
	v_cmp_ne_u64_e32 vcc, s[0:1], v[30:31]
	s_and_saveexec_b64 s[0:1], vcc
	s_xor_b64 s[8:9], exec, s[0:1]
	s_cbranch_execz .LBB6_151
; %bb.138:
	v_and_b32_e32 v30, 0x7fffffff, v28
	v_mov_b32_e32 v31, v3
	s_mov_b64 s[0:1], 0x43e00001
	v_cmp_gt_u64_e32 vcc, s[0:1], v[30:31]
	s_and_saveexec_b64 s[0:1], vcc
	s_xor_b64 s[14:15], exec, s[0:1]
	s_cbranch_execz .LBB6_150
; %bb.139:
	v_cmp_ne_u32_e32 vcc, 0, v28
	v_mov_b32_e32 v18, 0
	s_and_saveexec_b64 s[16:17], vcc
	s_cbranch_execz .LBB6_149
; %bb.140:
	v_bfe_u32 v18, v28, 23, 8
	s_movk_i32 s0, 0x7a
	v_sub_u32_e32 v29, 0x79, v18
	v_cmp_gt_u32_e32 vcc, s0, v18
	v_add_u32_e32 v28, 0xffffff81, v18
	v_cndmask_b32_e32 v29, 0, v29, vcc
	v_mov_b32_e32 v31, 0xffffff82
	v_cmp_eq_u32_e32 vcc, 0, v18
	v_cndmask_b32_e32 v18, v28, v31, vcc
	v_mov_b32_e32 v28, 0x78
	v_cndmask_b32_e32 v34, v29, v28, vcc
	v_add_u32_e32 v28, 20, v34
	v_or_b32_e32 v30, 0x800000, v2
	v_lshlrev_b64 v[28:29], v28, -1
	v_cndmask_b32_e32 v2, v30, v2, vcc
	v_not_b32_e32 v28, v28
	v_and_b32_e32 v30, v2, v28
	v_add_u32_e32 v28, 19, v34
	v_lshrrev_b64 v[2:3], v34, v[2:3]
	v_not_b32_e32 v29, v29
	v_lshlrev_b64 v[32:33], v28, 1
	v_lshrrev_b32_e32 v28, 23, v2
	v_and_b32_e32 v31, 0, v29
	v_add3_u32 v29, v34, v18, v28
	v_bfe_u32 v28, v2, 20, 1
	v_add_u32_e32 v28, -1, v28
	v_cmp_eq_u64_e32 vcc, v[30:31], v[32:33]
	v_cndmask_b32_e32 v28, 0, v28, vcc
	v_add_u32_e32 v28, v28, v2
	v_and_b32_e32 v28, 0xfffff, v28
	v_add_co_u32_e32 v2, vcc, v28, v2
	v_add_u32_e32 v18, 6, v29
	v_addc_co_u32_e32 v3, vcc, 0, v3, vcc
	v_cmp_ne_u32_e32 vcc, 0, v18
                                        ; implicit-def: $vgpr28
	s_and_saveexec_b64 s[0:1], vcc
	s_xor_b64 s[0:1], exec, s[0:1]
; %bb.141:
	s_mov_b64 s[18:19], 0xffffff
	v_add_u32_e32 v28, 7, v29
	v_cmp_lt_u64_e32 vcc, s[18:19], v[2:3]
	v_cndmask_b32_e32 v28, v18, v28, vcc
	v_cndmask_b32_e64 v18, 0, 1, vcc
	v_lshrrev_b64 v[2:3], v18, v[2:3]
; %bb.142:
	s_andn2_saveexec_b64 s[0:1], s[0:1]
; %bb.143:
	v_bfe_u32 v28, v2, 23, 1
; %bb.144:
	s_or_b64 exec, exec, s[0:1]
	v_lshrrev_b64 v[2:3], 20, v[2:3]
	v_cmp_gt_i32_e32 vcc, 16, v28
	v_cndmask_b32_e32 v3, 0, v3, vcc
	v_cndmask_b32_e32 v2, 7, v2, vcc
	v_cmp_ne_u32_e32 vcc, 0, v28
	v_cmp_ne_u64_e64 s[0:1], 0, v[2:3]
	s_or_b64 s[0:1], vcc, s[0:1]
                                        ; implicit-def: $vgpr18
	s_and_saveexec_b64 s[18:19], s[0:1]
	s_xor_b64 s[0:1], exec, s[18:19]
; %bb.145:
	v_min_i32_e32 v3, 15, v28
	v_lshl_or_b32 v3, v3, 3, v19
	v_and_or_b32 v18, v2, 7, v3
                                        ; implicit-def: $vgpr19
; %bb.146:
	s_andn2_saveexec_b64 s[0:1], s[0:1]
; %bb.147:
	v_mov_b32_e32 v18, v19
; %bb.148:
	s_or_b64 exec, exec, s[0:1]
.LBB6_149:
	s_or_b64 exec, exec, s[16:17]
.LBB6_150:
	s_andn2_saveexec_b64 s[0:1], s[14:15]
	s_or_b64 exec, exec, s[0:1]
                                        ; implicit-def: $vgpr28
                                        ; implicit-def: $vgpr2_vgpr3
.LBB6_151:
	s_andn2_saveexec_b64 s[0:1], s[8:9]
; %bb.152:
	s_movk_i32 s8, 0x7f
	v_or_b32_sdwa v19, v28, s8 dst_sel:DWORD dst_unused:UNUSED_PAD src0_sel:BYTE_3 src1_sel:DWORD
	v_cmp_eq_u64_e32 vcc, 0, v[2:3]
	v_cndmask_b32_e32 v18, v19, v18, vcc
; %bb.153:
	s_or_b64 exec, exec, s[0:1]
	v_mul_f32_e32 v2, v23, v4
	v_max_f32_e32 v2, 0xc3e00000, v2
	v_min_f32_e32 v28, 0x43e00000, v2
	v_mov_b32_e32 v3, 0
	s_movk_i32 s0, 0x80
	v_and_b32_sdwa v19, v28, s0 dst_sel:DWORD dst_unused:UNUSED_PAD src0_sel:BYTE_3 src1_sel:DWORD
	v_and_b32_e32 v30, 0x7f800000, v28
	v_mov_b32_e32 v31, v3
	s_mov_b64 s[0:1], 0x7f800000
	v_and_b32_e32 v2, 0x7fffff, v28
	v_or_b32_e32 v4, 0x7e, v19
	v_cmp_ne_u64_e32 vcc, s[0:1], v[30:31]
	s_and_saveexec_b64 s[0:1], vcc
	s_xor_b64 s[8:9], exec, s[0:1]
	s_cbranch_execz .LBB6_167
; %bb.154:
	v_and_b32_e32 v30, 0x7fffffff, v28
	v_mov_b32_e32 v31, v3
	s_mov_b64 s[0:1], 0x43e00001
	v_cmp_gt_u64_e32 vcc, s[0:1], v[30:31]
	s_and_saveexec_b64 s[0:1], vcc
	s_xor_b64 s[14:15], exec, s[0:1]
	s_cbranch_execz .LBB6_166
; %bb.155:
	v_cmp_ne_u32_e32 vcc, 0, v28
	v_mov_b32_e32 v4, 0
	s_and_saveexec_b64 s[16:17], vcc
	s_cbranch_execz .LBB6_165
; %bb.156:
	v_bfe_u32 v4, v28, 23, 8
	s_movk_i32 s0, 0x7a
	v_sub_u32_e32 v29, 0x79, v4
	v_cmp_gt_u32_e32 vcc, s0, v4
	v_add_u32_e32 v28, 0xffffff81, v4
	v_cndmask_b32_e32 v29, 0, v29, vcc
	v_mov_b32_e32 v31, 0xffffff82
	v_cmp_eq_u32_e32 vcc, 0, v4
	v_cndmask_b32_e32 v4, v28, v31, vcc
	v_mov_b32_e32 v28, 0x78
	v_cndmask_b32_e32 v34, v29, v28, vcc
	v_add_u32_e32 v28, 20, v34
	v_or_b32_e32 v30, 0x800000, v2
	v_lshlrev_b64 v[28:29], v28, -1
	v_cndmask_b32_e32 v2, v30, v2, vcc
	v_not_b32_e32 v28, v28
	v_and_b32_e32 v30, v2, v28
	v_add_u32_e32 v28, 19, v34
	v_lshrrev_b64 v[2:3], v34, v[2:3]
	v_not_b32_e32 v29, v29
	v_lshlrev_b64 v[32:33], v28, 1
	v_lshrrev_b32_e32 v28, 23, v2
	v_and_b32_e32 v31, 0, v29
	v_add3_u32 v29, v34, v4, v28
	v_bfe_u32 v28, v2, 20, 1
	v_add_u32_e32 v28, -1, v28
	v_cmp_eq_u64_e32 vcc, v[30:31], v[32:33]
	v_cndmask_b32_e32 v28, 0, v28, vcc
	v_add_u32_e32 v28, v28, v2
	v_and_b32_e32 v28, 0xfffff, v28
	v_add_co_u32_e32 v2, vcc, v28, v2
	v_add_u32_e32 v4, 6, v29
	v_addc_co_u32_e32 v3, vcc, 0, v3, vcc
	v_cmp_ne_u32_e32 vcc, 0, v4
                                        ; implicit-def: $vgpr28
	s_and_saveexec_b64 s[0:1], vcc
	s_xor_b64 s[0:1], exec, s[0:1]
; %bb.157:
	s_mov_b64 s[18:19], 0xffffff
	v_add_u32_e32 v28, 7, v29
	v_cmp_lt_u64_e32 vcc, s[18:19], v[2:3]
	v_cndmask_b32_e32 v28, v4, v28, vcc
	v_cndmask_b32_e64 v4, 0, 1, vcc
	v_lshrrev_b64 v[2:3], v4, v[2:3]
; %bb.158:
	s_andn2_saveexec_b64 s[0:1], s[0:1]
; %bb.159:
	v_bfe_u32 v28, v2, 23, 1
; %bb.160:
	s_or_b64 exec, exec, s[0:1]
	v_lshrrev_b64 v[2:3], 20, v[2:3]
	v_cmp_gt_i32_e32 vcc, 16, v28
	v_cndmask_b32_e32 v3, 0, v3, vcc
	v_cndmask_b32_e32 v2, 7, v2, vcc
	v_cmp_ne_u32_e32 vcc, 0, v28
	v_cmp_ne_u64_e64 s[0:1], 0, v[2:3]
	s_or_b64 s[0:1], vcc, s[0:1]
                                        ; implicit-def: $vgpr4
	s_and_saveexec_b64 s[18:19], s[0:1]
	s_xor_b64 s[0:1], exec, s[18:19]
; %bb.161:
	v_min_i32_e32 v3, 15, v28
	v_lshl_or_b32 v3, v3, 3, v19
	v_and_or_b32 v4, v2, 7, v3
                                        ; implicit-def: $vgpr19
; %bb.162:
	s_andn2_saveexec_b64 s[0:1], s[0:1]
; %bb.163:
	v_mov_b32_e32 v4, v19
; %bb.164:
	s_or_b64 exec, exec, s[0:1]
.LBB6_165:
	s_or_b64 exec, exec, s[16:17]
.LBB6_166:
	s_andn2_saveexec_b64 s[0:1], s[14:15]
	s_or_b64 exec, exec, s[0:1]
                                        ; implicit-def: $vgpr28
                                        ; implicit-def: $vgpr2_vgpr3
.LBB6_167:
	s_andn2_saveexec_b64 s[0:1], s[8:9]
; %bb.168:
	s_movk_i32 s8, 0x7f
	v_or_b32_sdwa v19, v28, s8 dst_sel:DWORD dst_unused:UNUSED_PAD src0_sel:BYTE_3 src1_sel:DWORD
	v_cmp_eq_u64_e32 vcc, 0, v[2:3]
	v_cndmask_b32_e32 v4, v19, v4, vcc
; %bb.169:
	s_or_b64 exec, exec, s[0:1]
	v_mul_f32_e32 v2, v23, v5
	v_max_f32_e32 v2, 0xc3e00000, v2
	v_min_f32_e32 v28, 0x43e00000, v2
	v_mov_b32_e32 v3, 0
	s_movk_i32 s0, 0x80
	v_and_b32_sdwa v19, v28, s0 dst_sel:DWORD dst_unused:UNUSED_PAD src0_sel:BYTE_3 src1_sel:DWORD
	v_and_b32_e32 v30, 0x7f800000, v28
	v_mov_b32_e32 v31, v3
	s_mov_b64 s[0:1], 0x7f800000
	v_and_b32_e32 v2, 0x7fffff, v28
	v_or_b32_e32 v5, 0x7e, v19
	v_cmp_ne_u64_e32 vcc, s[0:1], v[30:31]
	s_and_saveexec_b64 s[0:1], vcc
	s_xor_b64 s[8:9], exec, s[0:1]
	s_cbranch_execz .LBB6_183
; %bb.170:
	v_and_b32_e32 v30, 0x7fffffff, v28
	v_mov_b32_e32 v31, v3
	s_mov_b64 s[0:1], 0x43e00001
	v_cmp_gt_u64_e32 vcc, s[0:1], v[30:31]
	s_and_saveexec_b64 s[0:1], vcc
	s_xor_b64 s[14:15], exec, s[0:1]
	s_cbranch_execz .LBB6_182
; %bb.171:
	v_cmp_ne_u32_e32 vcc, 0, v28
	v_mov_b32_e32 v5, 0
	s_and_saveexec_b64 s[16:17], vcc
	s_cbranch_execz .LBB6_181
; %bb.172:
	v_bfe_u32 v5, v28, 23, 8
	s_movk_i32 s0, 0x7a
	v_sub_u32_e32 v29, 0x79, v5
	v_cmp_gt_u32_e32 vcc, s0, v5
	v_add_u32_e32 v28, 0xffffff81, v5
	v_cndmask_b32_e32 v29, 0, v29, vcc
	v_mov_b32_e32 v31, 0xffffff82
	v_cmp_eq_u32_e32 vcc, 0, v5
	v_cndmask_b32_e32 v5, v28, v31, vcc
	v_mov_b32_e32 v28, 0x78
	v_cndmask_b32_e32 v34, v29, v28, vcc
	v_add_u32_e32 v28, 20, v34
	v_or_b32_e32 v30, 0x800000, v2
	v_lshlrev_b64 v[28:29], v28, -1
	v_cndmask_b32_e32 v2, v30, v2, vcc
	v_not_b32_e32 v28, v28
	v_and_b32_e32 v30, v2, v28
	v_add_u32_e32 v28, 19, v34
	v_lshrrev_b64 v[2:3], v34, v[2:3]
	v_not_b32_e32 v29, v29
	v_lshlrev_b64 v[32:33], v28, 1
	v_lshrrev_b32_e32 v28, 23, v2
	v_and_b32_e32 v31, 0, v29
	v_add3_u32 v29, v34, v5, v28
	v_bfe_u32 v28, v2, 20, 1
	v_add_u32_e32 v28, -1, v28
	v_cmp_eq_u64_e32 vcc, v[30:31], v[32:33]
	v_cndmask_b32_e32 v28, 0, v28, vcc
	v_add_u32_e32 v28, v28, v2
	v_and_b32_e32 v28, 0xfffff, v28
	v_add_co_u32_e32 v2, vcc, v28, v2
	v_add_u32_e32 v5, 6, v29
	v_addc_co_u32_e32 v3, vcc, 0, v3, vcc
	v_cmp_ne_u32_e32 vcc, 0, v5
                                        ; implicit-def: $vgpr28
	s_and_saveexec_b64 s[0:1], vcc
	s_xor_b64 s[0:1], exec, s[0:1]
; %bb.173:
	s_mov_b64 s[18:19], 0xffffff
	v_add_u32_e32 v28, 7, v29
	v_cmp_lt_u64_e32 vcc, s[18:19], v[2:3]
	v_cndmask_b32_e32 v28, v5, v28, vcc
	v_cndmask_b32_e64 v5, 0, 1, vcc
	v_lshrrev_b64 v[2:3], v5, v[2:3]
; %bb.174:
	s_andn2_saveexec_b64 s[0:1], s[0:1]
; %bb.175:
	v_bfe_u32 v28, v2, 23, 1
; %bb.176:
	s_or_b64 exec, exec, s[0:1]
	v_lshrrev_b64 v[2:3], 20, v[2:3]
	v_cmp_gt_i32_e32 vcc, 16, v28
	v_cndmask_b32_e32 v3, 0, v3, vcc
	v_cndmask_b32_e32 v2, 7, v2, vcc
	v_cmp_ne_u32_e32 vcc, 0, v28
	v_cmp_ne_u64_e64 s[0:1], 0, v[2:3]
	s_or_b64 s[0:1], vcc, s[0:1]
                                        ; implicit-def: $vgpr5
	s_and_saveexec_b64 s[18:19], s[0:1]
	s_xor_b64 s[0:1], exec, s[18:19]
; %bb.177:
	v_min_i32_e32 v3, 15, v28
	v_lshl_or_b32 v3, v3, 3, v19
	v_and_or_b32 v5, v2, 7, v3
                                        ; implicit-def: $vgpr19
; %bb.178:
	s_andn2_saveexec_b64 s[0:1], s[0:1]
; %bb.179:
	v_mov_b32_e32 v5, v19
; %bb.180:
	s_or_b64 exec, exec, s[0:1]
.LBB6_181:
	s_or_b64 exec, exec, s[16:17]
.LBB6_182:
	s_andn2_saveexec_b64 s[0:1], s[14:15]
	s_or_b64 exec, exec, s[0:1]
                                        ; implicit-def: $vgpr28
                                        ; implicit-def: $vgpr2_vgpr3
.LBB6_183:
	s_andn2_saveexec_b64 s[0:1], s[8:9]
; %bb.184:
	s_movk_i32 s8, 0x7f
	v_or_b32_sdwa v19, v28, s8 dst_sel:DWORD dst_unused:UNUSED_PAD src0_sel:BYTE_3 src1_sel:DWORD
	v_cmp_eq_u64_e32 vcc, 0, v[2:3]
	v_cndmask_b32_e32 v5, v19, v5, vcc
; %bb.185:
	s_or_b64 exec, exec, s[0:1]
	v_mul_f32_e32 v2, v23, v6
	v_max_f32_e32 v2, 0xc3e00000, v2
	v_min_f32_e32 v28, 0x43e00000, v2
	v_mov_b32_e32 v3, 0
	s_movk_i32 s0, 0x80
	v_and_b32_sdwa v19, v28, s0 dst_sel:DWORD dst_unused:UNUSED_PAD src0_sel:BYTE_3 src1_sel:DWORD
	v_and_b32_e32 v30, 0x7f800000, v28
	v_mov_b32_e32 v31, v3
	s_mov_b64 s[0:1], 0x7f800000
	v_and_b32_e32 v2, 0x7fffff, v28
	v_or_b32_e32 v6, 0x7e, v19
	v_cmp_ne_u64_e32 vcc, s[0:1], v[30:31]
	s_and_saveexec_b64 s[0:1], vcc
	s_xor_b64 s[8:9], exec, s[0:1]
	s_cbranch_execz .LBB6_199
; %bb.186:
	v_and_b32_e32 v30, 0x7fffffff, v28
	v_mov_b32_e32 v31, v3
	s_mov_b64 s[0:1], 0x43e00001
	v_cmp_gt_u64_e32 vcc, s[0:1], v[30:31]
	s_and_saveexec_b64 s[0:1], vcc
	s_xor_b64 s[14:15], exec, s[0:1]
	s_cbranch_execz .LBB6_198
; %bb.187:
	v_cmp_ne_u32_e32 vcc, 0, v28
	v_mov_b32_e32 v6, 0
	s_and_saveexec_b64 s[16:17], vcc
	s_cbranch_execz .LBB6_197
; %bb.188:
	v_bfe_u32 v6, v28, 23, 8
	s_movk_i32 s0, 0x7a
	v_sub_u32_e32 v29, 0x79, v6
	v_cmp_gt_u32_e32 vcc, s0, v6
	v_add_u32_e32 v28, 0xffffff81, v6
	v_cndmask_b32_e32 v29, 0, v29, vcc
	v_mov_b32_e32 v31, 0xffffff82
	v_cmp_eq_u32_e32 vcc, 0, v6
	v_cndmask_b32_e32 v6, v28, v31, vcc
	v_mov_b32_e32 v28, 0x78
	v_cndmask_b32_e32 v34, v29, v28, vcc
	v_add_u32_e32 v28, 20, v34
	v_or_b32_e32 v30, 0x800000, v2
	v_lshlrev_b64 v[28:29], v28, -1
	v_cndmask_b32_e32 v2, v30, v2, vcc
	v_not_b32_e32 v28, v28
	v_and_b32_e32 v30, v2, v28
	v_add_u32_e32 v28, 19, v34
	v_lshrrev_b64 v[2:3], v34, v[2:3]
	v_not_b32_e32 v29, v29
	v_lshlrev_b64 v[32:33], v28, 1
	v_lshrrev_b32_e32 v28, 23, v2
	v_and_b32_e32 v31, 0, v29
	v_add3_u32 v29, v34, v6, v28
	v_bfe_u32 v28, v2, 20, 1
	v_add_u32_e32 v28, -1, v28
	v_cmp_eq_u64_e32 vcc, v[30:31], v[32:33]
	v_cndmask_b32_e32 v28, 0, v28, vcc
	v_add_u32_e32 v28, v28, v2
	v_and_b32_e32 v28, 0xfffff, v28
	v_add_co_u32_e32 v2, vcc, v28, v2
	v_add_u32_e32 v6, 6, v29
	v_addc_co_u32_e32 v3, vcc, 0, v3, vcc
	v_cmp_ne_u32_e32 vcc, 0, v6
                                        ; implicit-def: $vgpr28
	s_and_saveexec_b64 s[0:1], vcc
	s_xor_b64 s[0:1], exec, s[0:1]
; %bb.189:
	s_mov_b64 s[18:19], 0xffffff
	v_add_u32_e32 v28, 7, v29
	v_cmp_lt_u64_e32 vcc, s[18:19], v[2:3]
	v_cndmask_b32_e32 v28, v6, v28, vcc
	v_cndmask_b32_e64 v6, 0, 1, vcc
	v_lshrrev_b64 v[2:3], v6, v[2:3]
; %bb.190:
	s_andn2_saveexec_b64 s[0:1], s[0:1]
; %bb.191:
	v_bfe_u32 v28, v2, 23, 1
; %bb.192:
	s_or_b64 exec, exec, s[0:1]
	v_lshrrev_b64 v[2:3], 20, v[2:3]
	v_cmp_gt_i32_e32 vcc, 16, v28
	v_cndmask_b32_e32 v3, 0, v3, vcc
	v_cndmask_b32_e32 v2, 7, v2, vcc
	v_cmp_ne_u32_e32 vcc, 0, v28
	v_cmp_ne_u64_e64 s[0:1], 0, v[2:3]
	s_or_b64 s[0:1], vcc, s[0:1]
                                        ; implicit-def: $vgpr6
	s_and_saveexec_b64 s[18:19], s[0:1]
	s_xor_b64 s[0:1], exec, s[18:19]
; %bb.193:
	v_min_i32_e32 v3, 15, v28
	v_lshl_or_b32 v3, v3, 3, v19
	v_and_or_b32 v6, v2, 7, v3
                                        ; implicit-def: $vgpr19
; %bb.194:
	s_andn2_saveexec_b64 s[0:1], s[0:1]
; %bb.195:
	v_mov_b32_e32 v6, v19
; %bb.196:
	s_or_b64 exec, exec, s[0:1]
.LBB6_197:
	s_or_b64 exec, exec, s[16:17]
.LBB6_198:
	s_andn2_saveexec_b64 s[0:1], s[14:15]
	s_or_b64 exec, exec, s[0:1]
                                        ; implicit-def: $vgpr28
                                        ; implicit-def: $vgpr2_vgpr3
.LBB6_199:
	s_andn2_saveexec_b64 s[0:1], s[8:9]
; %bb.200:
	s_movk_i32 s8, 0x7f
	v_or_b32_sdwa v19, v28, s8 dst_sel:DWORD dst_unused:UNUSED_PAD src0_sel:BYTE_3 src1_sel:DWORD
	v_cmp_eq_u64_e32 vcc, 0, v[2:3]
	v_cndmask_b32_e32 v6, v19, v6, vcc
; %bb.201:
	s_or_b64 exec, exec, s[0:1]
	v_mul_f32_e32 v2, v23, v7
	v_max_f32_e32 v2, 0xc3e00000, v2
	v_min_f32_e32 v28, 0x43e00000, v2
	v_mov_b32_e32 v3, 0
	s_movk_i32 s0, 0x80
	v_and_b32_sdwa v19, v28, s0 dst_sel:DWORD dst_unused:UNUSED_PAD src0_sel:BYTE_3 src1_sel:DWORD
	v_and_b32_e32 v30, 0x7f800000, v28
	v_mov_b32_e32 v31, v3
	s_mov_b64 s[0:1], 0x7f800000
	v_and_b32_e32 v2, 0x7fffff, v28
	v_or_b32_e32 v7, 0x7e, v19
	v_cmp_ne_u64_e32 vcc, s[0:1], v[30:31]
	s_and_saveexec_b64 s[0:1], vcc
	s_xor_b64 s[8:9], exec, s[0:1]
	s_cbranch_execz .LBB6_215
; %bb.202:
	v_and_b32_e32 v30, 0x7fffffff, v28
	v_mov_b32_e32 v31, v3
	s_mov_b64 s[0:1], 0x43e00001
	v_cmp_gt_u64_e32 vcc, s[0:1], v[30:31]
	s_and_saveexec_b64 s[0:1], vcc
	s_xor_b64 s[14:15], exec, s[0:1]
	s_cbranch_execz .LBB6_214
; %bb.203:
	v_cmp_ne_u32_e32 vcc, 0, v28
	v_mov_b32_e32 v7, 0
	s_and_saveexec_b64 s[16:17], vcc
	s_cbranch_execz .LBB6_213
; %bb.204:
	v_bfe_u32 v7, v28, 23, 8
	s_movk_i32 s0, 0x7a
	v_sub_u32_e32 v29, 0x79, v7
	v_cmp_gt_u32_e32 vcc, s0, v7
	v_add_u32_e32 v28, 0xffffff81, v7
	v_cndmask_b32_e32 v29, 0, v29, vcc
	v_mov_b32_e32 v31, 0xffffff82
	v_cmp_eq_u32_e32 vcc, 0, v7
	v_cndmask_b32_e32 v7, v28, v31, vcc
	v_mov_b32_e32 v28, 0x78
	v_cndmask_b32_e32 v34, v29, v28, vcc
	v_add_u32_e32 v28, 20, v34
	v_or_b32_e32 v30, 0x800000, v2
	v_lshlrev_b64 v[28:29], v28, -1
	v_cndmask_b32_e32 v2, v30, v2, vcc
	v_not_b32_e32 v28, v28
	v_and_b32_e32 v30, v2, v28
	v_add_u32_e32 v28, 19, v34
	v_lshrrev_b64 v[2:3], v34, v[2:3]
	v_not_b32_e32 v29, v29
	v_lshlrev_b64 v[32:33], v28, 1
	v_lshrrev_b32_e32 v28, 23, v2
	v_and_b32_e32 v31, 0, v29
	v_add3_u32 v29, v34, v7, v28
	v_bfe_u32 v28, v2, 20, 1
	v_add_u32_e32 v28, -1, v28
	v_cmp_eq_u64_e32 vcc, v[30:31], v[32:33]
	v_cndmask_b32_e32 v28, 0, v28, vcc
	v_add_u32_e32 v28, v28, v2
	v_and_b32_e32 v28, 0xfffff, v28
	v_add_co_u32_e32 v2, vcc, v28, v2
	v_add_u32_e32 v7, 6, v29
	v_addc_co_u32_e32 v3, vcc, 0, v3, vcc
	v_cmp_ne_u32_e32 vcc, 0, v7
                                        ; implicit-def: $vgpr28
	s_and_saveexec_b64 s[0:1], vcc
	s_xor_b64 s[0:1], exec, s[0:1]
; %bb.205:
	s_mov_b64 s[18:19], 0xffffff
	v_add_u32_e32 v28, 7, v29
	v_cmp_lt_u64_e32 vcc, s[18:19], v[2:3]
	v_cndmask_b32_e32 v28, v7, v28, vcc
	v_cndmask_b32_e64 v7, 0, 1, vcc
	v_lshrrev_b64 v[2:3], v7, v[2:3]
; %bb.206:
	s_andn2_saveexec_b64 s[0:1], s[0:1]
; %bb.207:
	v_bfe_u32 v28, v2, 23, 1
; %bb.208:
	s_or_b64 exec, exec, s[0:1]
	v_lshrrev_b64 v[2:3], 20, v[2:3]
	v_cmp_gt_i32_e32 vcc, 16, v28
	v_cndmask_b32_e32 v3, 0, v3, vcc
	v_cndmask_b32_e32 v2, 7, v2, vcc
	v_cmp_ne_u32_e32 vcc, 0, v28
	v_cmp_ne_u64_e64 s[0:1], 0, v[2:3]
	s_or_b64 s[0:1], vcc, s[0:1]
                                        ; implicit-def: $vgpr7
	s_and_saveexec_b64 s[18:19], s[0:1]
	s_xor_b64 s[0:1], exec, s[18:19]
; %bb.209:
	v_min_i32_e32 v3, 15, v28
	v_lshl_or_b32 v3, v3, 3, v19
	v_and_or_b32 v7, v2, 7, v3
                                        ; implicit-def: $vgpr19
; %bb.210:
	s_andn2_saveexec_b64 s[0:1], s[0:1]
; %bb.211:
	v_mov_b32_e32 v7, v19
; %bb.212:
	s_or_b64 exec, exec, s[0:1]
.LBB6_213:
	s_or_b64 exec, exec, s[16:17]
.LBB6_214:
	s_andn2_saveexec_b64 s[0:1], s[14:15]
	s_or_b64 exec, exec, s[0:1]
                                        ; implicit-def: $vgpr28
                                        ; implicit-def: $vgpr2_vgpr3
.LBB6_215:
	s_andn2_saveexec_b64 s[0:1], s[8:9]
; %bb.216:
	s_movk_i32 s8, 0x7f
	v_or_b32_sdwa v19, v28, s8 dst_sel:DWORD dst_unused:UNUSED_PAD src0_sel:BYTE_3 src1_sel:DWORD
	v_cmp_eq_u64_e32 vcc, 0, v[2:3]
	v_cndmask_b32_e32 v7, v19, v7, vcc
; %bb.217:
	s_or_b64 exec, exec, s[0:1]
	v_mul_f32_e32 v2, v23, v8
	v_max_f32_e32 v2, 0xc3e00000, v2
	v_min_f32_e32 v28, 0x43e00000, v2
	v_mov_b32_e32 v3, 0
	s_movk_i32 s0, 0x80
	v_and_b32_sdwa v19, v28, s0 dst_sel:DWORD dst_unused:UNUSED_PAD src0_sel:BYTE_3 src1_sel:DWORD
	v_and_b32_e32 v30, 0x7f800000, v28
	v_mov_b32_e32 v31, v3
	s_mov_b64 s[0:1], 0x7f800000
	v_and_b32_e32 v2, 0x7fffff, v28
	v_or_b32_e32 v8, 0x7e, v19
	v_cmp_ne_u64_e32 vcc, s[0:1], v[30:31]
	s_and_saveexec_b64 s[0:1], vcc
	s_xor_b64 s[8:9], exec, s[0:1]
	s_cbranch_execz .LBB6_231
; %bb.218:
	v_and_b32_e32 v30, 0x7fffffff, v28
	v_mov_b32_e32 v31, v3
	s_mov_b64 s[0:1], 0x43e00001
	v_cmp_gt_u64_e32 vcc, s[0:1], v[30:31]
	s_and_saveexec_b64 s[0:1], vcc
	s_xor_b64 s[14:15], exec, s[0:1]
	s_cbranch_execz .LBB6_230
; %bb.219:
	v_cmp_ne_u32_e32 vcc, 0, v28
	v_mov_b32_e32 v8, 0
	s_and_saveexec_b64 s[16:17], vcc
	s_cbranch_execz .LBB6_229
; %bb.220:
	v_bfe_u32 v8, v28, 23, 8
	s_movk_i32 s0, 0x7a
	v_sub_u32_e32 v29, 0x79, v8
	v_cmp_gt_u32_e32 vcc, s0, v8
	v_add_u32_e32 v28, 0xffffff81, v8
	v_cndmask_b32_e32 v29, 0, v29, vcc
	v_mov_b32_e32 v31, 0xffffff82
	v_cmp_eq_u32_e32 vcc, 0, v8
	v_cndmask_b32_e32 v8, v28, v31, vcc
	v_mov_b32_e32 v28, 0x78
	v_cndmask_b32_e32 v34, v29, v28, vcc
	v_add_u32_e32 v28, 20, v34
	v_or_b32_e32 v30, 0x800000, v2
	v_lshlrev_b64 v[28:29], v28, -1
	v_cndmask_b32_e32 v2, v30, v2, vcc
	v_not_b32_e32 v28, v28
	v_and_b32_e32 v30, v2, v28
	v_add_u32_e32 v28, 19, v34
	v_lshrrev_b64 v[2:3], v34, v[2:3]
	v_not_b32_e32 v29, v29
	v_lshlrev_b64 v[32:33], v28, 1
	v_lshrrev_b32_e32 v28, 23, v2
	v_and_b32_e32 v31, 0, v29
	v_add3_u32 v29, v34, v8, v28
	v_bfe_u32 v28, v2, 20, 1
	v_add_u32_e32 v28, -1, v28
	v_cmp_eq_u64_e32 vcc, v[30:31], v[32:33]
	v_cndmask_b32_e32 v28, 0, v28, vcc
	v_add_u32_e32 v28, v28, v2
	v_and_b32_e32 v28, 0xfffff, v28
	v_add_co_u32_e32 v2, vcc, v28, v2
	v_add_u32_e32 v8, 6, v29
	v_addc_co_u32_e32 v3, vcc, 0, v3, vcc
	v_cmp_ne_u32_e32 vcc, 0, v8
                                        ; implicit-def: $vgpr28
	s_and_saveexec_b64 s[0:1], vcc
	s_xor_b64 s[0:1], exec, s[0:1]
; %bb.221:
	s_mov_b64 s[18:19], 0xffffff
	v_add_u32_e32 v28, 7, v29
	v_cmp_lt_u64_e32 vcc, s[18:19], v[2:3]
	v_cndmask_b32_e32 v28, v8, v28, vcc
	v_cndmask_b32_e64 v8, 0, 1, vcc
	v_lshrrev_b64 v[2:3], v8, v[2:3]
; %bb.222:
	s_andn2_saveexec_b64 s[0:1], s[0:1]
; %bb.223:
	v_bfe_u32 v28, v2, 23, 1
; %bb.224:
	s_or_b64 exec, exec, s[0:1]
	v_lshrrev_b64 v[2:3], 20, v[2:3]
	v_cmp_gt_i32_e32 vcc, 16, v28
	v_cndmask_b32_e32 v3, 0, v3, vcc
	v_cndmask_b32_e32 v2, 7, v2, vcc
	v_cmp_ne_u32_e32 vcc, 0, v28
	v_cmp_ne_u64_e64 s[0:1], 0, v[2:3]
	s_or_b64 s[0:1], vcc, s[0:1]
                                        ; implicit-def: $vgpr8
	s_and_saveexec_b64 s[18:19], s[0:1]
	s_xor_b64 s[0:1], exec, s[18:19]
; %bb.225:
	v_min_i32_e32 v3, 15, v28
	v_lshl_or_b32 v3, v3, 3, v19
	v_and_or_b32 v8, v2, 7, v3
                                        ; implicit-def: $vgpr19
; %bb.226:
	s_andn2_saveexec_b64 s[0:1], s[0:1]
; %bb.227:
	v_mov_b32_e32 v8, v19
; %bb.228:
	s_or_b64 exec, exec, s[0:1]
.LBB6_229:
	s_or_b64 exec, exec, s[16:17]
.LBB6_230:
	s_andn2_saveexec_b64 s[0:1], s[14:15]
	s_or_b64 exec, exec, s[0:1]
                                        ; implicit-def: $vgpr28
                                        ; implicit-def: $vgpr2_vgpr3
.LBB6_231:
	s_andn2_saveexec_b64 s[0:1], s[8:9]
; %bb.232:
	s_movk_i32 s8, 0x7f
	v_or_b32_sdwa v19, v28, s8 dst_sel:DWORD dst_unused:UNUSED_PAD src0_sel:BYTE_3 src1_sel:DWORD
	v_cmp_eq_u64_e32 vcc, 0, v[2:3]
	v_cndmask_b32_e32 v8, v19, v8, vcc
; %bb.233:
	s_or_b64 exec, exec, s[0:1]
	v_mul_f32_e32 v2, v23, v9
	v_max_f32_e32 v2, 0xc3e00000, v2
	v_min_f32_e32 v28, 0x43e00000, v2
	v_mov_b32_e32 v3, 0
	s_movk_i32 s0, 0x80
	v_and_b32_sdwa v19, v28, s0 dst_sel:DWORD dst_unused:UNUSED_PAD src0_sel:BYTE_3 src1_sel:DWORD
	v_and_b32_e32 v30, 0x7f800000, v28
	v_mov_b32_e32 v31, v3
	s_mov_b64 s[0:1], 0x7f800000
	v_and_b32_e32 v2, 0x7fffff, v28
	v_or_b32_e32 v9, 0x7e, v19
	v_cmp_ne_u64_e32 vcc, s[0:1], v[30:31]
	s_and_saveexec_b64 s[0:1], vcc
	s_xor_b64 s[8:9], exec, s[0:1]
	s_cbranch_execz .LBB6_247
; %bb.234:
	v_and_b32_e32 v30, 0x7fffffff, v28
	v_mov_b32_e32 v31, v3
	s_mov_b64 s[0:1], 0x43e00001
	v_cmp_gt_u64_e32 vcc, s[0:1], v[30:31]
	s_and_saveexec_b64 s[0:1], vcc
	s_xor_b64 s[14:15], exec, s[0:1]
	s_cbranch_execz .LBB6_246
; %bb.235:
	v_cmp_ne_u32_e32 vcc, 0, v28
	v_mov_b32_e32 v9, 0
	s_and_saveexec_b64 s[16:17], vcc
	s_cbranch_execz .LBB6_245
; %bb.236:
	v_bfe_u32 v9, v28, 23, 8
	s_movk_i32 s0, 0x7a
	v_sub_u32_e32 v29, 0x79, v9
	v_cmp_gt_u32_e32 vcc, s0, v9
	v_add_u32_e32 v28, 0xffffff81, v9
	v_cndmask_b32_e32 v29, 0, v29, vcc
	v_mov_b32_e32 v31, 0xffffff82
	v_cmp_eq_u32_e32 vcc, 0, v9
	v_cndmask_b32_e32 v9, v28, v31, vcc
	v_mov_b32_e32 v28, 0x78
	v_cndmask_b32_e32 v34, v29, v28, vcc
	v_add_u32_e32 v28, 20, v34
	v_or_b32_e32 v30, 0x800000, v2
	v_lshlrev_b64 v[28:29], v28, -1
	v_cndmask_b32_e32 v2, v30, v2, vcc
	v_not_b32_e32 v28, v28
	v_and_b32_e32 v30, v2, v28
	v_add_u32_e32 v28, 19, v34
	v_lshrrev_b64 v[2:3], v34, v[2:3]
	v_not_b32_e32 v29, v29
	v_lshlrev_b64 v[32:33], v28, 1
	v_lshrrev_b32_e32 v28, 23, v2
	v_and_b32_e32 v31, 0, v29
	v_add3_u32 v29, v34, v9, v28
	v_bfe_u32 v28, v2, 20, 1
	v_add_u32_e32 v28, -1, v28
	v_cmp_eq_u64_e32 vcc, v[30:31], v[32:33]
	v_cndmask_b32_e32 v28, 0, v28, vcc
	v_add_u32_e32 v28, v28, v2
	v_and_b32_e32 v28, 0xfffff, v28
	v_add_co_u32_e32 v2, vcc, v28, v2
	v_add_u32_e32 v9, 6, v29
	v_addc_co_u32_e32 v3, vcc, 0, v3, vcc
	v_cmp_ne_u32_e32 vcc, 0, v9
                                        ; implicit-def: $vgpr28
	s_and_saveexec_b64 s[0:1], vcc
	s_xor_b64 s[0:1], exec, s[0:1]
; %bb.237:
	s_mov_b64 s[18:19], 0xffffff
	v_add_u32_e32 v28, 7, v29
	v_cmp_lt_u64_e32 vcc, s[18:19], v[2:3]
	v_cndmask_b32_e32 v28, v9, v28, vcc
	v_cndmask_b32_e64 v9, 0, 1, vcc
	v_lshrrev_b64 v[2:3], v9, v[2:3]
; %bb.238:
	s_andn2_saveexec_b64 s[0:1], s[0:1]
; %bb.239:
	v_bfe_u32 v28, v2, 23, 1
; %bb.240:
	s_or_b64 exec, exec, s[0:1]
	v_lshrrev_b64 v[2:3], 20, v[2:3]
	v_cmp_gt_i32_e32 vcc, 16, v28
	v_cndmask_b32_e32 v3, 0, v3, vcc
	v_cndmask_b32_e32 v2, 7, v2, vcc
	v_cmp_ne_u32_e32 vcc, 0, v28
	v_cmp_ne_u64_e64 s[0:1], 0, v[2:3]
	s_or_b64 s[0:1], vcc, s[0:1]
                                        ; implicit-def: $vgpr9
	s_and_saveexec_b64 s[18:19], s[0:1]
	s_xor_b64 s[0:1], exec, s[18:19]
; %bb.241:
	v_min_i32_e32 v3, 15, v28
	v_lshl_or_b32 v3, v3, 3, v19
	v_and_or_b32 v9, v2, 7, v3
                                        ; implicit-def: $vgpr19
; %bb.242:
	s_andn2_saveexec_b64 s[0:1], s[0:1]
; %bb.243:
	v_mov_b32_e32 v9, v19
; %bb.244:
	s_or_b64 exec, exec, s[0:1]
.LBB6_245:
	s_or_b64 exec, exec, s[16:17]
.LBB6_246:
	s_andn2_saveexec_b64 s[0:1], s[14:15]
	s_or_b64 exec, exec, s[0:1]
                                        ; implicit-def: $vgpr28
                                        ; implicit-def: $vgpr2_vgpr3
.LBB6_247:
	s_andn2_saveexec_b64 s[0:1], s[8:9]
; %bb.248:
	s_movk_i32 s8, 0x7f
	v_or_b32_sdwa v19, v28, s8 dst_sel:DWORD dst_unused:UNUSED_PAD src0_sel:BYTE_3 src1_sel:DWORD
	v_cmp_eq_u64_e32 vcc, 0, v[2:3]
	v_cndmask_b32_e32 v9, v19, v9, vcc
; %bb.249:
	s_or_b64 exec, exec, s[0:1]
	v_mul_f32_e32 v2, v23, v10
	v_max_f32_e32 v2, 0xc3e00000, v2
	v_min_f32_e32 v28, 0x43e00000, v2
	v_mov_b32_e32 v3, 0
	s_movk_i32 s0, 0x80
	v_and_b32_sdwa v19, v28, s0 dst_sel:DWORD dst_unused:UNUSED_PAD src0_sel:BYTE_3 src1_sel:DWORD
	v_and_b32_e32 v30, 0x7f800000, v28
	v_mov_b32_e32 v31, v3
	s_mov_b64 s[0:1], 0x7f800000
	v_and_b32_e32 v2, 0x7fffff, v28
	v_or_b32_e32 v10, 0x7e, v19
	v_cmp_ne_u64_e32 vcc, s[0:1], v[30:31]
	s_and_saveexec_b64 s[0:1], vcc
	s_xor_b64 s[8:9], exec, s[0:1]
	s_cbranch_execz .LBB6_263
; %bb.250:
	v_and_b32_e32 v30, 0x7fffffff, v28
	v_mov_b32_e32 v31, v3
	s_mov_b64 s[0:1], 0x43e00001
	v_cmp_gt_u64_e32 vcc, s[0:1], v[30:31]
	s_and_saveexec_b64 s[0:1], vcc
	s_xor_b64 s[14:15], exec, s[0:1]
	s_cbranch_execz .LBB6_262
; %bb.251:
	v_cmp_ne_u32_e32 vcc, 0, v28
	v_mov_b32_e32 v10, 0
	s_and_saveexec_b64 s[16:17], vcc
	s_cbranch_execz .LBB6_261
; %bb.252:
	v_bfe_u32 v10, v28, 23, 8
	s_movk_i32 s0, 0x7a
	v_sub_u32_e32 v29, 0x79, v10
	v_cmp_gt_u32_e32 vcc, s0, v10
	v_add_u32_e32 v28, 0xffffff81, v10
	v_cndmask_b32_e32 v29, 0, v29, vcc
	v_mov_b32_e32 v31, 0xffffff82
	v_cmp_eq_u32_e32 vcc, 0, v10
	v_cndmask_b32_e32 v10, v28, v31, vcc
	v_mov_b32_e32 v28, 0x78
	v_cndmask_b32_e32 v34, v29, v28, vcc
	v_add_u32_e32 v28, 20, v34
	v_or_b32_e32 v30, 0x800000, v2
	v_lshlrev_b64 v[28:29], v28, -1
	v_cndmask_b32_e32 v2, v30, v2, vcc
	v_not_b32_e32 v28, v28
	v_and_b32_e32 v30, v2, v28
	v_add_u32_e32 v28, 19, v34
	v_lshrrev_b64 v[2:3], v34, v[2:3]
	v_not_b32_e32 v29, v29
	v_lshlrev_b64 v[32:33], v28, 1
	v_lshrrev_b32_e32 v28, 23, v2
	v_and_b32_e32 v31, 0, v29
	v_add3_u32 v29, v34, v10, v28
	v_bfe_u32 v28, v2, 20, 1
	v_add_u32_e32 v28, -1, v28
	v_cmp_eq_u64_e32 vcc, v[30:31], v[32:33]
	v_cndmask_b32_e32 v28, 0, v28, vcc
	v_add_u32_e32 v28, v28, v2
	v_and_b32_e32 v28, 0xfffff, v28
	v_add_co_u32_e32 v2, vcc, v28, v2
	v_add_u32_e32 v10, 6, v29
	v_addc_co_u32_e32 v3, vcc, 0, v3, vcc
	v_cmp_ne_u32_e32 vcc, 0, v10
                                        ; implicit-def: $vgpr28
	s_and_saveexec_b64 s[0:1], vcc
	s_xor_b64 s[0:1], exec, s[0:1]
; %bb.253:
	s_mov_b64 s[18:19], 0xffffff
	v_add_u32_e32 v28, 7, v29
	v_cmp_lt_u64_e32 vcc, s[18:19], v[2:3]
	v_cndmask_b32_e32 v28, v10, v28, vcc
	v_cndmask_b32_e64 v10, 0, 1, vcc
	v_lshrrev_b64 v[2:3], v10, v[2:3]
; %bb.254:
	s_andn2_saveexec_b64 s[0:1], s[0:1]
; %bb.255:
	v_bfe_u32 v28, v2, 23, 1
; %bb.256:
	s_or_b64 exec, exec, s[0:1]
	v_lshrrev_b64 v[2:3], 20, v[2:3]
	v_cmp_gt_i32_e32 vcc, 16, v28
	v_cndmask_b32_e32 v3, 0, v3, vcc
	v_cndmask_b32_e32 v2, 7, v2, vcc
	v_cmp_ne_u32_e32 vcc, 0, v28
	v_cmp_ne_u64_e64 s[0:1], 0, v[2:3]
	s_or_b64 s[0:1], vcc, s[0:1]
                                        ; implicit-def: $vgpr10
	s_and_saveexec_b64 s[18:19], s[0:1]
	s_xor_b64 s[0:1], exec, s[18:19]
; %bb.257:
	v_min_i32_e32 v3, 15, v28
	v_lshl_or_b32 v3, v3, 3, v19
	v_and_or_b32 v10, v2, 7, v3
                                        ; implicit-def: $vgpr19
; %bb.258:
	s_andn2_saveexec_b64 s[0:1], s[0:1]
; %bb.259:
	v_mov_b32_e32 v10, v19
; %bb.260:
	s_or_b64 exec, exec, s[0:1]
.LBB6_261:
	s_or_b64 exec, exec, s[16:17]
.LBB6_262:
	s_andn2_saveexec_b64 s[0:1], s[14:15]
	s_or_b64 exec, exec, s[0:1]
                                        ; implicit-def: $vgpr28
                                        ; implicit-def: $vgpr2_vgpr3
.LBB6_263:
	s_andn2_saveexec_b64 s[0:1], s[8:9]
; %bb.264:
	s_movk_i32 s8, 0x7f
	v_or_b32_sdwa v19, v28, s8 dst_sel:DWORD dst_unused:UNUSED_PAD src0_sel:BYTE_3 src1_sel:DWORD
	v_cmp_eq_u64_e32 vcc, 0, v[2:3]
	v_cndmask_b32_e32 v10, v19, v10, vcc
; %bb.265:
	s_or_b64 exec, exec, s[0:1]
	v_mul_f32_e32 v2, v23, v11
	v_max_f32_e32 v2, 0xc3e00000, v2
	v_min_f32_e32 v28, 0x43e00000, v2
	v_mov_b32_e32 v3, 0
	s_movk_i32 s0, 0x80
	v_and_b32_sdwa v19, v28, s0 dst_sel:DWORD dst_unused:UNUSED_PAD src0_sel:BYTE_3 src1_sel:DWORD
	v_and_b32_e32 v30, 0x7f800000, v28
	v_mov_b32_e32 v31, v3
	s_mov_b64 s[0:1], 0x7f800000
	v_and_b32_e32 v2, 0x7fffff, v28
	v_or_b32_e32 v11, 0x7e, v19
	v_cmp_ne_u64_e32 vcc, s[0:1], v[30:31]
	s_and_saveexec_b64 s[0:1], vcc
	s_xor_b64 s[8:9], exec, s[0:1]
	s_cbranch_execz .LBB6_279
; %bb.266:
	v_and_b32_e32 v30, 0x7fffffff, v28
	v_mov_b32_e32 v31, v3
	s_mov_b64 s[0:1], 0x43e00001
	v_cmp_gt_u64_e32 vcc, s[0:1], v[30:31]
	s_and_saveexec_b64 s[0:1], vcc
	s_xor_b64 s[14:15], exec, s[0:1]
	s_cbranch_execz .LBB6_278
; %bb.267:
	v_cmp_ne_u32_e32 vcc, 0, v28
	v_mov_b32_e32 v11, 0
	s_and_saveexec_b64 s[16:17], vcc
	s_cbranch_execz .LBB6_277
; %bb.268:
	v_bfe_u32 v11, v28, 23, 8
	s_movk_i32 s0, 0x7a
	v_sub_u32_e32 v29, 0x79, v11
	v_cmp_gt_u32_e32 vcc, s0, v11
	v_add_u32_e32 v28, 0xffffff81, v11
	v_cndmask_b32_e32 v29, 0, v29, vcc
	v_mov_b32_e32 v31, 0xffffff82
	v_cmp_eq_u32_e32 vcc, 0, v11
	v_cndmask_b32_e32 v11, v28, v31, vcc
	v_mov_b32_e32 v28, 0x78
	v_cndmask_b32_e32 v34, v29, v28, vcc
	v_add_u32_e32 v28, 20, v34
	v_or_b32_e32 v30, 0x800000, v2
	v_lshlrev_b64 v[28:29], v28, -1
	v_cndmask_b32_e32 v2, v30, v2, vcc
	v_not_b32_e32 v28, v28
	v_and_b32_e32 v30, v2, v28
	v_add_u32_e32 v28, 19, v34
	v_lshrrev_b64 v[2:3], v34, v[2:3]
	v_not_b32_e32 v29, v29
	v_lshlrev_b64 v[32:33], v28, 1
	v_lshrrev_b32_e32 v28, 23, v2
	v_and_b32_e32 v31, 0, v29
	v_add3_u32 v29, v34, v11, v28
	v_bfe_u32 v28, v2, 20, 1
	v_add_u32_e32 v28, -1, v28
	v_cmp_eq_u64_e32 vcc, v[30:31], v[32:33]
	v_cndmask_b32_e32 v28, 0, v28, vcc
	v_add_u32_e32 v28, v28, v2
	v_and_b32_e32 v28, 0xfffff, v28
	v_add_co_u32_e32 v2, vcc, v28, v2
	v_add_u32_e32 v11, 6, v29
	v_addc_co_u32_e32 v3, vcc, 0, v3, vcc
	v_cmp_ne_u32_e32 vcc, 0, v11
                                        ; implicit-def: $vgpr28
	s_and_saveexec_b64 s[0:1], vcc
	s_xor_b64 s[0:1], exec, s[0:1]
; %bb.269:
	s_mov_b64 s[18:19], 0xffffff
	v_add_u32_e32 v28, 7, v29
	v_cmp_lt_u64_e32 vcc, s[18:19], v[2:3]
	v_cndmask_b32_e32 v28, v11, v28, vcc
	v_cndmask_b32_e64 v11, 0, 1, vcc
	v_lshrrev_b64 v[2:3], v11, v[2:3]
; %bb.270:
	s_andn2_saveexec_b64 s[0:1], s[0:1]
; %bb.271:
	v_bfe_u32 v28, v2, 23, 1
; %bb.272:
	s_or_b64 exec, exec, s[0:1]
	v_lshrrev_b64 v[2:3], 20, v[2:3]
	v_cmp_gt_i32_e32 vcc, 16, v28
	v_cndmask_b32_e32 v3, 0, v3, vcc
	v_cndmask_b32_e32 v2, 7, v2, vcc
	v_cmp_ne_u32_e32 vcc, 0, v28
	v_cmp_ne_u64_e64 s[0:1], 0, v[2:3]
	s_or_b64 s[0:1], vcc, s[0:1]
                                        ; implicit-def: $vgpr11
	s_and_saveexec_b64 s[18:19], s[0:1]
	s_xor_b64 s[0:1], exec, s[18:19]
; %bb.273:
	v_min_i32_e32 v3, 15, v28
	v_lshl_or_b32 v3, v3, 3, v19
	v_and_or_b32 v11, v2, 7, v3
                                        ; implicit-def: $vgpr19
; %bb.274:
	s_andn2_saveexec_b64 s[0:1], s[0:1]
; %bb.275:
	v_mov_b32_e32 v11, v19
; %bb.276:
	s_or_b64 exec, exec, s[0:1]
.LBB6_277:
	s_or_b64 exec, exec, s[16:17]
.LBB6_278:
	s_andn2_saveexec_b64 s[0:1], s[14:15]
	s_or_b64 exec, exec, s[0:1]
                                        ; implicit-def: $vgpr28
                                        ; implicit-def: $vgpr2_vgpr3
.LBB6_279:
	s_andn2_saveexec_b64 s[0:1], s[8:9]
; %bb.280:
	s_movk_i32 s8, 0x7f
	v_or_b32_sdwa v19, v28, s8 dst_sel:DWORD dst_unused:UNUSED_PAD src0_sel:BYTE_3 src1_sel:DWORD
	v_cmp_eq_u64_e32 vcc, 0, v[2:3]
	v_cndmask_b32_e32 v11, v19, v11, vcc
; %bb.281:
	s_or_b64 exec, exec, s[0:1]
	v_mul_f32_e32 v2, v23, v27
	v_max_f32_e32 v2, 0xc3e00000, v2
	v_min_f32_e32 v28, 0x43e00000, v2
	v_mov_b32_e32 v3, 0
	s_movk_i32 s0, 0x80
	v_and_b32_sdwa v27, v28, s0 dst_sel:DWORD dst_unused:UNUSED_PAD src0_sel:BYTE_3 src1_sel:DWORD
	v_and_b32_e32 v30, 0x7f800000, v28
	v_mov_b32_e32 v31, v3
	s_mov_b64 s[0:1], 0x7f800000
	v_and_b32_e32 v2, 0x7fffff, v28
	v_or_b32_e32 v19, 0x7e, v27
	v_cmp_ne_u64_e32 vcc, s[0:1], v[30:31]
	s_and_saveexec_b64 s[0:1], vcc
	s_xor_b64 s[8:9], exec, s[0:1]
	s_cbranch_execz .LBB6_295
; %bb.282:
	v_and_b32_e32 v30, 0x7fffffff, v28
	v_mov_b32_e32 v31, v3
	s_mov_b64 s[0:1], 0x43e00001
	v_cmp_gt_u64_e32 vcc, s[0:1], v[30:31]
	s_and_saveexec_b64 s[0:1], vcc
	s_xor_b64 s[14:15], exec, s[0:1]
	s_cbranch_execz .LBB6_294
; %bb.283:
	v_cmp_ne_u32_e32 vcc, 0, v28
	v_mov_b32_e32 v19, 0
	s_and_saveexec_b64 s[16:17], vcc
	s_cbranch_execz .LBB6_293
; %bb.284:
	v_bfe_u32 v19, v28, 23, 8
	s_movk_i32 s0, 0x7a
	v_sub_u32_e32 v29, 0x79, v19
	v_cmp_gt_u32_e32 vcc, s0, v19
	v_add_u32_e32 v28, 0xffffff81, v19
	v_cndmask_b32_e32 v29, 0, v29, vcc
	v_mov_b32_e32 v31, 0xffffff82
	v_cmp_eq_u32_e32 vcc, 0, v19
	v_cndmask_b32_e32 v19, v28, v31, vcc
	v_mov_b32_e32 v28, 0x78
	v_cndmask_b32_e32 v34, v29, v28, vcc
	v_add_u32_e32 v28, 20, v34
	v_or_b32_e32 v30, 0x800000, v2
	v_lshlrev_b64 v[28:29], v28, -1
	v_cndmask_b32_e32 v2, v30, v2, vcc
	v_not_b32_e32 v28, v28
	v_and_b32_e32 v30, v2, v28
	v_add_u32_e32 v28, 19, v34
	v_lshrrev_b64 v[2:3], v34, v[2:3]
	v_not_b32_e32 v29, v29
	v_lshlrev_b64 v[32:33], v28, 1
	v_lshrrev_b32_e32 v28, 23, v2
	v_and_b32_e32 v31, 0, v29
	v_add3_u32 v29, v34, v19, v28
	v_bfe_u32 v28, v2, 20, 1
	v_add_u32_e32 v28, -1, v28
	v_cmp_eq_u64_e32 vcc, v[30:31], v[32:33]
	v_cndmask_b32_e32 v28, 0, v28, vcc
	v_add_u32_e32 v28, v28, v2
	v_and_b32_e32 v28, 0xfffff, v28
	v_add_co_u32_e32 v2, vcc, v28, v2
	v_add_u32_e32 v19, 6, v29
	v_addc_co_u32_e32 v3, vcc, 0, v3, vcc
	v_cmp_ne_u32_e32 vcc, 0, v19
                                        ; implicit-def: $vgpr28
	s_and_saveexec_b64 s[0:1], vcc
	s_xor_b64 s[0:1], exec, s[0:1]
; %bb.285:
	s_mov_b64 s[18:19], 0xffffff
	v_add_u32_e32 v28, 7, v29
	v_cmp_lt_u64_e32 vcc, s[18:19], v[2:3]
	v_cndmask_b32_e32 v28, v19, v28, vcc
	v_cndmask_b32_e64 v19, 0, 1, vcc
	v_lshrrev_b64 v[2:3], v19, v[2:3]
; %bb.286:
	s_andn2_saveexec_b64 s[0:1], s[0:1]
; %bb.287:
	v_bfe_u32 v28, v2, 23, 1
; %bb.288:
	s_or_b64 exec, exec, s[0:1]
	v_lshrrev_b64 v[2:3], 20, v[2:3]
	v_cmp_gt_i32_e32 vcc, 16, v28
	v_cndmask_b32_e32 v3, 0, v3, vcc
	v_cndmask_b32_e32 v2, 7, v2, vcc
	v_cmp_ne_u32_e32 vcc, 0, v28
	v_cmp_ne_u64_e64 s[0:1], 0, v[2:3]
	s_or_b64 s[0:1], vcc, s[0:1]
                                        ; implicit-def: $vgpr19
	s_and_saveexec_b64 s[18:19], s[0:1]
	s_xor_b64 s[0:1], exec, s[18:19]
; %bb.289:
	v_min_i32_e32 v3, 15, v28
	v_lshl_or_b32 v3, v3, 3, v27
	v_and_or_b32 v19, v2, 7, v3
                                        ; implicit-def: $vgpr27
; %bb.290:
	s_andn2_saveexec_b64 s[0:1], s[0:1]
; %bb.291:
	v_mov_b32_e32 v19, v27
; %bb.292:
	s_or_b64 exec, exec, s[0:1]
.LBB6_293:
	s_or_b64 exec, exec, s[16:17]
.LBB6_294:
	s_andn2_saveexec_b64 s[0:1], s[14:15]
	s_or_b64 exec, exec, s[0:1]
                                        ; implicit-def: $vgpr28
                                        ; implicit-def: $vgpr2_vgpr3
.LBB6_295:
	s_andn2_saveexec_b64 s[0:1], s[8:9]
; %bb.296:
	s_movk_i32 s8, 0x7f
	v_or_b32_sdwa v27, v28, s8 dst_sel:DWORD dst_unused:UNUSED_PAD src0_sel:BYTE_3 src1_sel:DWORD
	v_cmp_eq_u64_e32 vcc, 0, v[2:3]
	v_cndmask_b32_e32 v19, v27, v19, vcc
; %bb.297:
	s_or_b64 exec, exec, s[0:1]
	v_mul_f32_e32 v2, v23, v26
	v_max_f32_e32 v2, 0xc3e00000, v2
	v_min_f32_e32 v28, 0x43e00000, v2
	v_mov_b32_e32 v3, 0
	s_movk_i32 s0, 0x80
	v_and_b32_sdwa v27, v28, s0 dst_sel:DWORD dst_unused:UNUSED_PAD src0_sel:BYTE_3 src1_sel:DWORD
	v_and_b32_e32 v30, 0x7f800000, v28
	v_mov_b32_e32 v31, v3
	s_mov_b64 s[0:1], 0x7f800000
	v_and_b32_e32 v2, 0x7fffff, v28
	v_or_b32_e32 v26, 0x7e, v27
	v_cmp_ne_u64_e32 vcc, s[0:1], v[30:31]
	s_and_saveexec_b64 s[0:1], vcc
	s_xor_b64 s[8:9], exec, s[0:1]
	s_cbranch_execz .LBB6_311
; %bb.298:
	v_and_b32_e32 v30, 0x7fffffff, v28
	v_mov_b32_e32 v31, v3
	s_mov_b64 s[0:1], 0x43e00001
	v_cmp_gt_u64_e32 vcc, s[0:1], v[30:31]
	s_and_saveexec_b64 s[0:1], vcc
	s_xor_b64 s[14:15], exec, s[0:1]
	s_cbranch_execz .LBB6_310
; %bb.299:
	v_cmp_ne_u32_e32 vcc, 0, v28
	v_mov_b32_e32 v26, 0
	s_and_saveexec_b64 s[16:17], vcc
	s_cbranch_execz .LBB6_309
; %bb.300:
	v_bfe_u32 v26, v28, 23, 8
	s_movk_i32 s0, 0x7a
	v_sub_u32_e32 v29, 0x79, v26
	v_cmp_gt_u32_e32 vcc, s0, v26
	v_add_u32_e32 v28, 0xffffff81, v26
	v_cndmask_b32_e32 v29, 0, v29, vcc
	v_mov_b32_e32 v31, 0xffffff82
	v_cmp_eq_u32_e32 vcc, 0, v26
	v_cndmask_b32_e32 v26, v28, v31, vcc
	v_mov_b32_e32 v28, 0x78
	v_cndmask_b32_e32 v34, v29, v28, vcc
	v_add_u32_e32 v28, 20, v34
	v_or_b32_e32 v30, 0x800000, v2
	v_lshlrev_b64 v[28:29], v28, -1
	v_cndmask_b32_e32 v2, v30, v2, vcc
	v_not_b32_e32 v28, v28
	v_and_b32_e32 v30, v2, v28
	v_add_u32_e32 v28, 19, v34
	v_lshrrev_b64 v[2:3], v34, v[2:3]
	v_not_b32_e32 v29, v29
	v_lshlrev_b64 v[32:33], v28, 1
	v_lshrrev_b32_e32 v28, 23, v2
	v_and_b32_e32 v31, 0, v29
	v_add3_u32 v29, v34, v26, v28
	v_bfe_u32 v28, v2, 20, 1
	v_add_u32_e32 v28, -1, v28
	v_cmp_eq_u64_e32 vcc, v[30:31], v[32:33]
	v_cndmask_b32_e32 v28, 0, v28, vcc
	v_add_u32_e32 v28, v28, v2
	v_and_b32_e32 v28, 0xfffff, v28
	v_add_co_u32_e32 v2, vcc, v28, v2
	v_add_u32_e32 v26, 6, v29
	v_addc_co_u32_e32 v3, vcc, 0, v3, vcc
	v_cmp_ne_u32_e32 vcc, 0, v26
                                        ; implicit-def: $vgpr28
	s_and_saveexec_b64 s[0:1], vcc
	s_xor_b64 s[0:1], exec, s[0:1]
; %bb.301:
	s_mov_b64 s[18:19], 0xffffff
	v_add_u32_e32 v28, 7, v29
	v_cmp_lt_u64_e32 vcc, s[18:19], v[2:3]
	v_cndmask_b32_e32 v28, v26, v28, vcc
	v_cndmask_b32_e64 v26, 0, 1, vcc
	v_lshrrev_b64 v[2:3], v26, v[2:3]
; %bb.302:
	s_andn2_saveexec_b64 s[0:1], s[0:1]
; %bb.303:
	v_bfe_u32 v28, v2, 23, 1
; %bb.304:
	s_or_b64 exec, exec, s[0:1]
	v_lshrrev_b64 v[2:3], 20, v[2:3]
	v_cmp_gt_i32_e32 vcc, 16, v28
	v_cndmask_b32_e32 v3, 0, v3, vcc
	v_cndmask_b32_e32 v2, 7, v2, vcc
	v_cmp_ne_u32_e32 vcc, 0, v28
	v_cmp_ne_u64_e64 s[0:1], 0, v[2:3]
	s_or_b64 s[0:1], vcc, s[0:1]
                                        ; implicit-def: $vgpr26
	s_and_saveexec_b64 s[18:19], s[0:1]
	s_xor_b64 s[0:1], exec, s[18:19]
; %bb.305:
	v_min_i32_e32 v3, 15, v28
	v_lshl_or_b32 v3, v3, 3, v27
	v_and_or_b32 v26, v2, 7, v3
                                        ; implicit-def: $vgpr27
; %bb.306:
	s_andn2_saveexec_b64 s[0:1], s[0:1]
; %bb.307:
	v_mov_b32_e32 v26, v27
; %bb.308:
	s_or_b64 exec, exec, s[0:1]
.LBB6_309:
	s_or_b64 exec, exec, s[16:17]
.LBB6_310:
	s_andn2_saveexec_b64 s[0:1], s[14:15]
	s_or_b64 exec, exec, s[0:1]
                                        ; implicit-def: $vgpr28
                                        ; implicit-def: $vgpr2_vgpr3
.LBB6_311:
	s_andn2_saveexec_b64 s[0:1], s[8:9]
; %bb.312:
	s_movk_i32 s8, 0x7f
	v_or_b32_sdwa v27, v28, s8 dst_sel:DWORD dst_unused:UNUSED_PAD src0_sel:BYTE_3 src1_sel:DWORD
	v_cmp_eq_u64_e32 vcc, 0, v[2:3]
	v_cndmask_b32_e32 v26, v27, v26, vcc
; %bb.313:
	s_or_b64 exec, exec, s[0:1]
	v_mul_f32_e32 v2, v23, v24
	v_max_f32_e32 v2, 0xc3e00000, v2
	v_min_f32_e32 v28, 0x43e00000, v2
	v_mov_b32_e32 v3, 0
	s_movk_i32 s0, 0x80
	v_and_b32_sdwa v27, v28, s0 dst_sel:DWORD dst_unused:UNUSED_PAD src0_sel:BYTE_3 src1_sel:DWORD
	v_and_b32_e32 v30, 0x7f800000, v28
	v_mov_b32_e32 v31, v3
	s_mov_b64 s[0:1], 0x7f800000
	v_and_b32_e32 v2, 0x7fffff, v28
	v_or_b32_e32 v24, 0x7e, v27
	v_cmp_ne_u64_e32 vcc, s[0:1], v[30:31]
	s_and_saveexec_b64 s[0:1], vcc
	s_xor_b64 s[8:9], exec, s[0:1]
	s_cbranch_execz .LBB6_327
; %bb.314:
	v_and_b32_e32 v30, 0x7fffffff, v28
	v_mov_b32_e32 v31, v3
	s_mov_b64 s[0:1], 0x43e00001
	v_cmp_gt_u64_e32 vcc, s[0:1], v[30:31]
	s_and_saveexec_b64 s[0:1], vcc
	s_xor_b64 s[14:15], exec, s[0:1]
	s_cbranch_execz .LBB6_326
; %bb.315:
	v_cmp_ne_u32_e32 vcc, 0, v28
	v_mov_b32_e32 v24, 0
	s_and_saveexec_b64 s[16:17], vcc
	s_cbranch_execz .LBB6_325
; %bb.316:
	v_bfe_u32 v24, v28, 23, 8
	s_movk_i32 s0, 0x7a
	v_sub_u32_e32 v29, 0x79, v24
	v_cmp_gt_u32_e32 vcc, s0, v24
	v_add_u32_e32 v28, 0xffffff81, v24
	v_cndmask_b32_e32 v29, 0, v29, vcc
	v_mov_b32_e32 v31, 0xffffff82
	v_cmp_eq_u32_e32 vcc, 0, v24
	v_cndmask_b32_e32 v24, v28, v31, vcc
	v_mov_b32_e32 v28, 0x78
	v_cndmask_b32_e32 v34, v29, v28, vcc
	v_add_u32_e32 v28, 20, v34
	v_or_b32_e32 v30, 0x800000, v2
	v_lshlrev_b64 v[28:29], v28, -1
	v_cndmask_b32_e32 v2, v30, v2, vcc
	v_not_b32_e32 v28, v28
	v_and_b32_e32 v30, v2, v28
	v_add_u32_e32 v28, 19, v34
	v_lshrrev_b64 v[2:3], v34, v[2:3]
	v_not_b32_e32 v29, v29
	v_lshlrev_b64 v[32:33], v28, 1
	v_lshrrev_b32_e32 v28, 23, v2
	v_and_b32_e32 v31, 0, v29
	v_add3_u32 v29, v34, v24, v28
	v_bfe_u32 v28, v2, 20, 1
	v_add_u32_e32 v28, -1, v28
	v_cmp_eq_u64_e32 vcc, v[30:31], v[32:33]
	v_cndmask_b32_e32 v28, 0, v28, vcc
	v_add_u32_e32 v28, v28, v2
	v_and_b32_e32 v28, 0xfffff, v28
	v_add_co_u32_e32 v2, vcc, v28, v2
	v_add_u32_e32 v24, 6, v29
	v_addc_co_u32_e32 v3, vcc, 0, v3, vcc
	v_cmp_ne_u32_e32 vcc, 0, v24
                                        ; implicit-def: $vgpr28
	s_and_saveexec_b64 s[0:1], vcc
	s_xor_b64 s[0:1], exec, s[0:1]
; %bb.317:
	s_mov_b64 s[18:19], 0xffffff
	v_add_u32_e32 v28, 7, v29
	v_cmp_lt_u64_e32 vcc, s[18:19], v[2:3]
	v_cndmask_b32_e32 v28, v24, v28, vcc
	v_cndmask_b32_e64 v24, 0, 1, vcc
	v_lshrrev_b64 v[2:3], v24, v[2:3]
; %bb.318:
	s_andn2_saveexec_b64 s[0:1], s[0:1]
; %bb.319:
	v_bfe_u32 v28, v2, 23, 1
; %bb.320:
	s_or_b64 exec, exec, s[0:1]
	v_lshrrev_b64 v[2:3], 20, v[2:3]
	v_cmp_gt_i32_e32 vcc, 16, v28
	v_cndmask_b32_e32 v3, 0, v3, vcc
	v_cndmask_b32_e32 v2, 7, v2, vcc
	v_cmp_ne_u32_e32 vcc, 0, v28
	v_cmp_ne_u64_e64 s[0:1], 0, v[2:3]
	s_or_b64 s[0:1], vcc, s[0:1]
                                        ; implicit-def: $vgpr24
	s_and_saveexec_b64 s[18:19], s[0:1]
	s_xor_b64 s[0:1], exec, s[18:19]
; %bb.321:
	v_min_i32_e32 v3, 15, v28
	v_lshl_or_b32 v3, v3, 3, v27
	v_and_or_b32 v24, v2, 7, v3
                                        ; implicit-def: $vgpr27
; %bb.322:
	s_andn2_saveexec_b64 s[0:1], s[0:1]
; %bb.323:
	v_mov_b32_e32 v24, v27
; %bb.324:
	s_or_b64 exec, exec, s[0:1]
.LBB6_325:
	s_or_b64 exec, exec, s[16:17]
.LBB6_326:
	s_andn2_saveexec_b64 s[0:1], s[14:15]
	s_or_b64 exec, exec, s[0:1]
                                        ; implicit-def: $vgpr28
                                        ; implicit-def: $vgpr2_vgpr3
.LBB6_327:
	s_andn2_saveexec_b64 s[0:1], s[8:9]
; %bb.328:
	s_movk_i32 s8, 0x7f
	v_or_b32_sdwa v27, v28, s8 dst_sel:DWORD dst_unused:UNUSED_PAD src0_sel:BYTE_3 src1_sel:DWORD
	v_cmp_eq_u64_e32 vcc, 0, v[2:3]
	v_cndmask_b32_e32 v24, v27, v24, vcc
; %bb.329:
	s_or_b64 exec, exec, s[0:1]
	v_mul_f32_e32 v2, v23, v22
	v_max_f32_e32 v2, 0xc3e00000, v2
	v_min_f32_e32 v27, 0x43e00000, v2
	v_mov_b32_e32 v3, 0
	s_movk_i32 s0, 0x80
	v_and_b32_sdwa v22, v27, s0 dst_sel:DWORD dst_unused:UNUSED_PAD src0_sel:BYTE_3 src1_sel:DWORD
	v_and_b32_e32 v28, 0x7f800000, v27
	v_mov_b32_e32 v29, v3
	s_mov_b64 s[0:1], 0x7f800000
	v_and_b32_e32 v2, 0x7fffff, v27
	v_or_b32_e32 v23, 0x7e, v22
	v_cmp_ne_u64_e32 vcc, s[0:1], v[28:29]
	s_and_saveexec_b64 s[0:1], vcc
	s_xor_b64 s[8:9], exec, s[0:1]
	s_cbranch_execz .LBB6_343
; %bb.330:
	v_and_b32_e32 v28, 0x7fffffff, v27
	v_mov_b32_e32 v29, v3
	s_mov_b64 s[0:1], 0x43e00001
	v_cmp_gt_u64_e32 vcc, s[0:1], v[28:29]
	s_and_saveexec_b64 s[0:1], vcc
	s_xor_b64 s[14:15], exec, s[0:1]
	s_cbranch_execz .LBB6_342
; %bb.331:
	v_cmp_ne_u32_e32 vcc, 0, v27
	v_mov_b32_e32 v23, 0
	s_and_saveexec_b64 s[16:17], vcc
	s_cbranch_execz .LBB6_341
; %bb.332:
	v_bfe_u32 v23, v27, 23, 8
	s_movk_i32 s0, 0x7a
	v_sub_u32_e32 v28, 0x79, v23
	v_cmp_gt_u32_e32 vcc, s0, v23
	v_add_u32_e32 v27, 0xffffff81, v23
	v_cndmask_b32_e32 v28, 0, v28, vcc
	v_mov_b32_e32 v30, 0xffffff82
	v_cmp_eq_u32_e32 vcc, 0, v23
	v_cndmask_b32_e32 v23, v27, v30, vcc
	v_mov_b32_e32 v27, 0x78
	v_cndmask_b32_e32 v27, v28, v27, vcc
	v_or_b32_e32 v29, 0x800000, v2
	v_add_u32_e32 v28, 20, v27
	v_cndmask_b32_e32 v2, v29, v2, vcc
	v_lshlrev_b64 v[28:29], v28, -1
	v_not_b32_e32 v28, v28
	v_and_b32_e32 v30, v2, v28
	v_add_u32_e32 v28, 19, v27
	v_lshrrev_b64 v[2:3], v27, v[2:3]
	v_not_b32_e32 v29, v29
	v_lshlrev_b64 v[32:33], v28, 1
	v_lshrrev_b32_e32 v28, 23, v2
	v_and_b32_e32 v31, 0, v29
	v_add3_u32 v28, v27, v23, v28
	v_bfe_u32 v27, v2, 20, 1
	v_add_u32_e32 v27, -1, v27
	v_cmp_eq_u64_e32 vcc, v[30:31], v[32:33]
	v_cndmask_b32_e32 v27, 0, v27, vcc
	v_add_u32_e32 v27, v27, v2
	v_and_b32_e32 v27, 0xfffff, v27
	v_add_co_u32_e32 v2, vcc, v27, v2
	v_add_u32_e32 v23, 6, v28
	v_addc_co_u32_e32 v3, vcc, 0, v3, vcc
	v_cmp_ne_u32_e32 vcc, 0, v23
                                        ; implicit-def: $vgpr27
	s_and_saveexec_b64 s[0:1], vcc
	s_xor_b64 s[0:1], exec, s[0:1]
; %bb.333:
	s_mov_b64 s[18:19], 0xffffff
	v_add_u32_e32 v27, 7, v28
	v_cmp_lt_u64_e32 vcc, s[18:19], v[2:3]
	v_cndmask_b32_e32 v27, v23, v27, vcc
	v_cndmask_b32_e64 v23, 0, 1, vcc
	v_lshrrev_b64 v[2:3], v23, v[2:3]
; %bb.334:
	s_andn2_saveexec_b64 s[0:1], s[0:1]
; %bb.335:
	v_bfe_u32 v27, v2, 23, 1
; %bb.336:
	s_or_b64 exec, exec, s[0:1]
	v_lshrrev_b64 v[2:3], 20, v[2:3]
	v_cmp_gt_i32_e32 vcc, 16, v27
	v_cndmask_b32_e32 v3, 0, v3, vcc
	v_cndmask_b32_e32 v2, 7, v2, vcc
	v_cmp_ne_u32_e32 vcc, 0, v27
	v_cmp_ne_u64_e64 s[0:1], 0, v[2:3]
	s_or_b64 s[0:1], vcc, s[0:1]
                                        ; implicit-def: $vgpr23
	s_and_saveexec_b64 s[18:19], s[0:1]
	s_xor_b64 s[0:1], exec, s[18:19]
; %bb.337:
	v_min_i32_e32 v3, 15, v27
	v_lshl_or_b32 v3, v3, 3, v22
	v_and_or_b32 v23, v2, 7, v3
                                        ; implicit-def: $vgpr22
; %bb.338:
	s_andn2_saveexec_b64 s[0:1], s[0:1]
; %bb.339:
	v_mov_b32_e32 v23, v22
; %bb.340:
	s_or_b64 exec, exec, s[0:1]
.LBB6_341:
	s_or_b64 exec, exec, s[16:17]
.LBB6_342:
	s_andn2_saveexec_b64 s[0:1], s[14:15]
	s_or_b64 exec, exec, s[0:1]
                                        ; implicit-def: $vgpr27
                                        ; implicit-def: $vgpr2_vgpr3
.LBB6_343:
	s_andn2_saveexec_b64 s[0:1], s[8:9]
; %bb.344:
	s_movk_i32 s8, 0x7f
	v_or_b32_sdwa v22, v27, s8 dst_sel:DWORD dst_unused:UNUSED_PAD src0_sel:BYTE_3 src1_sel:DWORD
	v_cmp_eq_u64_e32 vcc, 0, v[2:3]
	v_cndmask_b32_e32 v23, v22, v23, vcc
; %bb.345:
	s_or_b64 exec, exec, s[0:1]
	v_lshlrev_b64 v[2:3], 3, v[14:15]
	v_mov_b32_e32 v14, 0x240
	v_mad_i64_i32 v[14:15], s[0:1], s20, v14, v[16:17]
	v_add_co_u32_e32 v2, vcc, v14, v2
	v_lshlrev_b16_e32 v5, 8, v5
	v_addc_co_u32_e32 v3, vcc, v15, v3, vcc
	v_or_b32_sdwa v4, v4, v5 dst_sel:DWORD dst_unused:UNUSED_PAD src0_sel:BYTE_0 src1_sel:DWORD
	v_lshlrev_b16_e32 v5, 8, v7
	v_add_co_u32_e32 v14, vcc, v12, v46
	v_lshlrev_b16_e32 v9, 8, v9
	v_or_b32_sdwa v5, v6, v5 dst_sel:WORD_1 dst_unused:UNUSED_PAD src0_sel:BYTE_0 src1_sel:DWORD
	v_addc_co_u32_e32 v15, vcc, 0, v13, vcc
	v_lshlrev_b16_e32 v12, 8, v26
	v_lshlrev_b16_e32 v13, 8, v23
	v_or_b32_sdwa v8, v8, v9 dst_sel:DWORD dst_unused:UNUSED_PAD src0_sel:BYTE_0 src1_sel:DWORD
	v_lshlrev_b16_e32 v9, 8, v11
	v_or_b32_sdwa v11, v4, v5 dst_sel:DWORD dst_unused:UNUSED_PAD src0_sel:WORD_0 src1_sel:DWORD
	v_lshlrev_b16_e32 v1, 8, v1
	v_lshlrev_b16_e32 v4, 8, v18
	v_or_b32_sdwa v12, v19, v12 dst_sel:DWORD dst_unused:UNUSED_PAD src0_sel:BYTE_0 src1_sel:DWORD
	v_or_b32_sdwa v13, v24, v13 dst_sel:WORD_1 dst_unused:UNUSED_PAD src0_sel:BYTE_0 src1_sel:DWORD
	v_or_b32_sdwa v9, v10, v9 dst_sel:WORD_1 dst_unused:UNUSED_PAD src0_sel:BYTE_0 src1_sel:DWORD
	v_or_b32_sdwa v1, v21, v1 dst_sel:DWORD dst_unused:UNUSED_PAD src0_sel:BYTE_0 src1_sel:DWORD
	v_or_b32_sdwa v4, v25, v4 dst_sel:WORD_1 dst_unused:UNUSED_PAD src0_sel:BYTE_0 src1_sel:DWORD
	v_and_b32_e32 v0, 3, v0
	v_or_b32_sdwa v13, v12, v13 dst_sel:DWORD dst_unused:UNUSED_PAD src0_sel:WORD_0 src1_sel:DWORD
	v_or_b32_sdwa v12, v8, v9 dst_sel:DWORD dst_unused:UNUSED_PAD src0_sel:WORD_0 src1_sel:DWORD
	;; [unrolled: 1-line block ×3, first 2 shown]
	v_cmp_eq_u32_e32 vcc, 0, v0
	global_store_dwordx4 v[14:15], v[10:13], off
	s_and_saveexec_b64 s[0:1], vcc
	s_cbranch_execz .LBB6_347
; %bb.346:
	v_add_f32_e32 v1, 0x42fe0000, v20
	v_min_f32_e32 v1, 0x437f0000, v1
	v_max_f32_e32 v1, 0, v1
	v_cvt_i32_f32_e32 v4, v1
	v_lshrrev_b32_e32 v0, 2, v47
	v_add_co_u32_e32 v0, vcc, v2, v0
	v_addc_co_u32_e32 v1, vcc, 0, v3, vcc
	global_store_byte v[0:1], v4, off
.LBB6_347:
	s_or_b64 exec, exec, s[0:1]
	v_cmp_eq_u32_e32 vcc, 0, v47
	s_and_saveexec_b64 s[0:1], vcc
	s_cbranch_execz .LBB6_349
; %bb.348:
	v_mov_b32_e32 v0, 0
	global_store_byte v[2:3], v0, off offset:7
.LBB6_349:
	s_or_b64 exec, exec, s[0:1]
                                        ; implicit-def: $vgpr46
                                        ; implicit-def: $vgpr29
                                        ; implicit-def: $vgpr34
                                        ; implicit-def: $vgpr35
                                        ; implicit-def: $vgpr36
                                        ; implicit-def: $vgpr37
                                        ; implicit-def: $vgpr38
                                        ; implicit-def: $vgpr39
                                        ; implicit-def: $vgpr40
                                        ; implicit-def: $vgpr41
                                        ; implicit-def: $vgpr42
                                        ; implicit-def: $vgpr43
                                        ; implicit-def: $vgpr44
                                        ; implicit-def: $vgpr45
                                        ; implicit-def: $vgpr48
                                        ; implicit-def: $vgpr49
                                        ; implicit-def: $vgpr50
                                        ; implicit-def: $vgpr12_vgpr13
.LBB6_350:
	s_andn2_saveexec_b64 s[0:1], s[2:3]
                                        ; implicit-def: $vgpr11
	s_cbranch_execz .LBB6_352
; %bb.351:
	v_lshlrev_b32_e32 v0, 1, v46
	v_add_co_u32_e32 v4, vcc, v12, v0
	s_mov_b32 s0, 0x7060302
	v_addc_co_u32_e32 v5, vcc, 0, v13, vcc
	v_perm_b32 v3, v40, v39, s0
	v_perm_b32 v2, v38, v37, s0
	;; [unrolled: 1-line block ×4, first 2 shown]
	global_store_dwordx4 v[4:5], v[0:3], off offset:-448
	s_nop 0
	v_perm_b32 v3, v50, v49, s0
	v_perm_b32 v2, v48, v45, s0
	;; [unrolled: 1-line block ×4, first 2 shown]
	global_store_dwordx4 v[4:5], v[0:3], off offset:-432
.LBB6_352:
	s_or_b64 exec, exec, s[10:11]
                                        ; implicit-def: $vgpr10
                                        ; implicit-def: $vgpr44
                                        ; implicit-def: $vgpr46
                                        ; implicit-def: $vgpr12_vgpr13_vgpr14_vgpr15_vgpr16_vgpr17_vgpr18_vgpr19_vgpr20_vgpr21_vgpr22_vgpr23_vgpr24_vgpr25_vgpr26_vgpr27
	s_andn2_saveexec_b64 s[0:1], s[12:13]
	s_cbranch_execz .LBB6_17
.LBB6_353:
	s_mov_b32 s2, 0x7f800000
	v_and_b32_e32 v0, 0x7f800000, v12
	v_cmp_ne_u32_e32 vcc, s2, v0
                                        ; implicit-def: $vgpr0
	s_and_saveexec_b64 s[2:3], vcc
	s_xor_b64 s[2:3], exec, s[2:3]
; %bb.354:
	v_bfe_u32 v0, v12, 16, 1
	s_movk_i32 s8, 0x7fff
	v_add3_u32 v0, v12, v0, s8
; %bb.355:
	s_andn2_saveexec_b64 s[2:3], s[2:3]
; %bb.356:
	v_mov_b32_e32 v0, 0
	v_or_b32_e32 v1, 0x10000, v12
	v_cmp_eq_u32_sdwa vcc, v12, v0 src0_sel:WORD_0 src1_sel:DWORD
	v_cndmask_b32_e32 v0, v1, v12, vcc
; %bb.357:
	s_or_b64 exec, exec, s[2:3]
	s_mov_b32 s2, 0x7f800000
	v_and_b32_e32 v1, 0x7f800000, v13
	v_cmp_ne_u32_e32 vcc, s2, v1
                                        ; implicit-def: $vgpr1
	s_and_saveexec_b64 s[2:3], vcc
	s_xor_b64 s[2:3], exec, s[2:3]
; %bb.358:
	v_bfe_u32 v1, v13, 16, 1
	s_movk_i32 s8, 0x7fff
	v_add3_u32 v1, v13, v1, s8
; %bb.359:
	s_andn2_saveexec_b64 s[2:3], s[2:3]
; %bb.360:
	v_mov_b32_e32 v1, 0
	v_or_b32_e32 v2, 0x10000, v13
	v_cmp_eq_u32_sdwa vcc, v13, v1 src0_sel:WORD_0 src1_sel:DWORD
	v_cndmask_b32_e32 v1, v2, v13, vcc
; %bb.361:
	s_or_b64 exec, exec, s[2:3]
	s_mov_b32 s2, 0x7f800000
	v_and_b32_e32 v2, 0x7f800000, v14
	v_cmp_ne_u32_e32 vcc, s2, v2
                                        ; implicit-def: $vgpr2
	s_and_saveexec_b64 s[2:3], vcc
	s_xor_b64 s[2:3], exec, s[2:3]
; %bb.362:
	v_bfe_u32 v2, v14, 16, 1
	s_movk_i32 s8, 0x7fff
	v_add3_u32 v2, v14, v2, s8
; %bb.363:
	s_andn2_saveexec_b64 s[2:3], s[2:3]
; %bb.364:
	v_mov_b32_e32 v2, 0
	v_or_b32_e32 v3, 0x10000, v14
	v_cmp_eq_u32_sdwa vcc, v14, v2 src0_sel:WORD_0 src1_sel:DWORD
	v_cndmask_b32_e32 v2, v3, v14, vcc
; %bb.365:
	s_or_b64 exec, exec, s[2:3]
	s_mov_b32 s2, 0x7f800000
	v_and_b32_e32 v3, 0x7f800000, v15
	v_cmp_ne_u32_e32 vcc, s2, v3
                                        ; implicit-def: $vgpr3
	s_and_saveexec_b64 s[2:3], vcc
	s_xor_b64 s[2:3], exec, s[2:3]
; %bb.366:
	v_bfe_u32 v3, v15, 16, 1
	s_movk_i32 s8, 0x7fff
	v_add3_u32 v3, v15, v3, s8
; %bb.367:
	s_andn2_saveexec_b64 s[2:3], s[2:3]
; %bb.368:
	v_mov_b32_e32 v3, 0
	v_or_b32_e32 v4, 0x10000, v15
	v_cmp_eq_u32_sdwa vcc, v15, v3 src0_sel:WORD_0 src1_sel:DWORD
	v_cndmask_b32_e32 v3, v4, v15, vcc
; %bb.369:
	s_or_b64 exec, exec, s[2:3]
	s_mov_b32 s2, 0x7f800000
	v_and_b32_e32 v4, 0x7f800000, v16
	v_cmp_ne_u32_e32 vcc, s2, v4
                                        ; implicit-def: $vgpr4
	s_and_saveexec_b64 s[2:3], vcc
	s_xor_b64 s[2:3], exec, s[2:3]
; %bb.370:
	v_bfe_u32 v4, v16, 16, 1
	s_movk_i32 s8, 0x7fff
	v_add3_u32 v4, v16, v4, s8
; %bb.371:
	s_andn2_saveexec_b64 s[2:3], s[2:3]
; %bb.372:
	v_mov_b32_e32 v4, 0
	v_or_b32_e32 v5, 0x10000, v16
	v_cmp_eq_u32_sdwa vcc, v16, v4 src0_sel:WORD_0 src1_sel:DWORD
	v_cndmask_b32_e32 v4, v5, v16, vcc
; %bb.373:
	s_or_b64 exec, exec, s[2:3]
	s_mov_b32 s2, 0x7f800000
	v_and_b32_e32 v5, 0x7f800000, v17
	v_cmp_ne_u32_e32 vcc, s2, v5
                                        ; implicit-def: $vgpr5
	s_and_saveexec_b64 s[2:3], vcc
	s_xor_b64 s[2:3], exec, s[2:3]
; %bb.374:
	v_bfe_u32 v5, v17, 16, 1
	s_movk_i32 s8, 0x7fff
	v_add3_u32 v5, v17, v5, s8
; %bb.375:
	s_andn2_saveexec_b64 s[2:3], s[2:3]
; %bb.376:
	v_mov_b32_e32 v5, 0
	v_or_b32_e32 v6, 0x10000, v17
	v_cmp_eq_u32_sdwa vcc, v17, v5 src0_sel:WORD_0 src1_sel:DWORD
	v_cndmask_b32_e32 v5, v6, v17, vcc
; %bb.377:
	s_or_b64 exec, exec, s[2:3]
	s_mov_b32 s2, 0x7f800000
	v_and_b32_e32 v6, 0x7f800000, v18
	v_cmp_ne_u32_e32 vcc, s2, v6
                                        ; implicit-def: $vgpr6
	s_and_saveexec_b64 s[2:3], vcc
	s_xor_b64 s[2:3], exec, s[2:3]
; %bb.378:
	v_bfe_u32 v6, v18, 16, 1
	s_movk_i32 s8, 0x7fff
	v_add3_u32 v6, v18, v6, s8
; %bb.379:
	s_andn2_saveexec_b64 s[2:3], s[2:3]
; %bb.380:
	v_mov_b32_e32 v6, 0
	v_or_b32_e32 v7, 0x10000, v18
	v_cmp_eq_u32_sdwa vcc, v18, v6 src0_sel:WORD_0 src1_sel:DWORD
	v_cndmask_b32_e32 v6, v7, v18, vcc
; %bb.381:
	s_or_b64 exec, exec, s[2:3]
	s_mov_b32 s2, 0x7f800000
	s_waitcnt lgkmcnt(0)
	v_and_b32_e32 v7, 0x7f800000, v19
	v_cmp_ne_u32_e32 vcc, s2, v7
                                        ; implicit-def: $vgpr7
	s_and_saveexec_b64 s[2:3], vcc
	s_xor_b64 s[2:3], exec, s[2:3]
; %bb.382:
	v_bfe_u32 v7, v19, 16, 1
	s_movk_i32 s8, 0x7fff
	v_add3_u32 v7, v19, v7, s8
; %bb.383:
	s_andn2_saveexec_b64 s[2:3], s[2:3]
; %bb.384:
	v_mov_b32_e32 v7, 0
	v_or_b32_e32 v8, 0x10000, v19
	v_cmp_eq_u32_sdwa vcc, v19, v7 src0_sel:WORD_0 src1_sel:DWORD
	v_cndmask_b32_e32 v7, v8, v19, vcc
; %bb.385:
	s_or_b64 exec, exec, s[2:3]
	s_mov_b32 s2, 0x7f800000
	v_and_b32_e32 v8, 0x7f800000, v20
	v_cmp_ne_u32_e32 vcc, s2, v8
                                        ; implicit-def: $vgpr8
	s_and_saveexec_b64 s[2:3], vcc
	s_xor_b64 s[2:3], exec, s[2:3]
; %bb.386:
	v_bfe_u32 v8, v20, 16, 1
	s_movk_i32 s8, 0x7fff
	v_add3_u32 v8, v20, v8, s8
; %bb.387:
	s_andn2_saveexec_b64 s[2:3], s[2:3]
; %bb.388:
	v_mov_b32_e32 v8, 0
	v_or_b32_e32 v9, 0x10000, v20
	v_cmp_eq_u32_sdwa vcc, v20, v8 src0_sel:WORD_0 src1_sel:DWORD
	v_cndmask_b32_e32 v8, v9, v20, vcc
; %bb.389:
	s_or_b64 exec, exec, s[2:3]
	s_mov_b32 s2, 0x7f800000
	v_and_b32_e32 v9, 0x7f800000, v21
	v_cmp_ne_u32_e32 vcc, s2, v9
                                        ; implicit-def: $vgpr9
	s_and_saveexec_b64 s[2:3], vcc
	s_xor_b64 s[2:3], exec, s[2:3]
; %bb.390:
	v_bfe_u32 v9, v21, 16, 1
	s_movk_i32 s8, 0x7fff
	v_add3_u32 v9, v21, v9, s8
; %bb.391:
	s_andn2_saveexec_b64 s[2:3], s[2:3]
; %bb.392:
	v_mov_b32_e32 v9, 0
	v_or_b32_e32 v12, 0x10000, v21
	v_cmp_eq_u32_sdwa vcc, v21, v9 src0_sel:WORD_0 src1_sel:DWORD
	v_cndmask_b32_e32 v9, v12, v21, vcc
; %bb.393:
	s_or_b64 exec, exec, s[2:3]
	s_mov_b32 s2, 0x7f800000
	v_and_b32_e32 v12, 0x7f800000, v22
	v_cmp_ne_u32_e32 vcc, s2, v12
                                        ; implicit-def: $vgpr28
	s_and_saveexec_b64 s[2:3], vcc
	s_xor_b64 s[2:3], exec, s[2:3]
; %bb.394:
	v_bfe_u32 v12, v22, 16, 1
	s_movk_i32 s8, 0x7fff
	v_add3_u32 v28, v22, v12, s8
; %bb.395:
	s_andn2_saveexec_b64 s[2:3], s[2:3]
; %bb.396:
	v_mov_b32_e32 v12, 0
	v_or_b32_e32 v13, 0x10000, v22
	v_cmp_eq_u32_sdwa vcc, v22, v12 src0_sel:WORD_0 src1_sel:DWORD
	v_cndmask_b32_e32 v28, v13, v22, vcc
; %bb.397:
	s_or_b64 exec, exec, s[2:3]
	s_mov_b32 s2, 0x7f800000
	v_and_b32_e32 v12, 0x7f800000, v23
	v_cmp_ne_u32_e32 vcc, s2, v12
                                        ; implicit-def: $vgpr29
	s_and_saveexec_b64 s[2:3], vcc
	s_xor_b64 s[2:3], exec, s[2:3]
; %bb.398:
	v_bfe_u32 v12, v23, 16, 1
	s_movk_i32 s8, 0x7fff
	v_add3_u32 v29, v23, v12, s8
; %bb.399:
	s_andn2_saveexec_b64 s[2:3], s[2:3]
; %bb.400:
	v_mov_b32_e32 v12, 0
	v_or_b32_e32 v13, 0x10000, v23
	v_cmp_eq_u32_sdwa vcc, v23, v12 src0_sel:WORD_0 src1_sel:DWORD
	v_cndmask_b32_e32 v29, v13, v23, vcc
; %bb.401:
	s_or_b64 exec, exec, s[2:3]
	s_mov_b32 s2, 0x7f800000
	v_and_b32_e32 v12, 0x7f800000, v24
	v_cmp_ne_u32_e32 vcc, s2, v12
                                        ; implicit-def: $vgpr30
	s_and_saveexec_b64 s[2:3], vcc
	s_xor_b64 s[2:3], exec, s[2:3]
; %bb.402:
	v_bfe_u32 v12, v24, 16, 1
	s_movk_i32 s8, 0x7fff
	v_add3_u32 v30, v24, v12, s8
; %bb.403:
	s_andn2_saveexec_b64 s[2:3], s[2:3]
; %bb.404:
	v_mov_b32_e32 v12, 0
	v_or_b32_e32 v13, 0x10000, v24
	v_cmp_eq_u32_sdwa vcc, v24, v12 src0_sel:WORD_0 src1_sel:DWORD
	v_cndmask_b32_e32 v30, v13, v24, vcc
; %bb.405:
	s_or_b64 exec, exec, s[2:3]
	s_mov_b32 s2, 0x7f800000
	v_and_b32_e32 v12, 0x7f800000, v25
	v_cmp_ne_u32_e32 vcc, s2, v12
                                        ; implicit-def: $vgpr31
	s_and_saveexec_b64 s[2:3], vcc
	s_xor_b64 s[2:3], exec, s[2:3]
; %bb.406:
	v_bfe_u32 v12, v25, 16, 1
	s_movk_i32 s8, 0x7fff
	v_add3_u32 v31, v25, v12, s8
; %bb.407:
	s_andn2_saveexec_b64 s[2:3], s[2:3]
; %bb.408:
	v_mov_b32_e32 v12, 0
	v_or_b32_e32 v13, 0x10000, v25
	v_cmp_eq_u32_sdwa vcc, v25, v12 src0_sel:WORD_0 src1_sel:DWORD
	v_cndmask_b32_e32 v31, v13, v25, vcc
; %bb.409:
	s_or_b64 exec, exec, s[2:3]
	s_mov_b32 s2, 0x7f800000
	v_and_b32_e32 v12, 0x7f800000, v26
	v_cmp_ne_u32_e32 vcc, s2, v12
                                        ; implicit-def: $vgpr32
	s_and_saveexec_b64 s[2:3], vcc
	s_xor_b64 s[2:3], exec, s[2:3]
; %bb.410:
	v_bfe_u32 v12, v26, 16, 1
	s_movk_i32 s8, 0x7fff
	v_add3_u32 v32, v26, v12, s8
; %bb.411:
	s_andn2_saveexec_b64 s[2:3], s[2:3]
; %bb.412:
	v_mov_b32_e32 v12, 0
	v_or_b32_e32 v13, 0x10000, v26
	v_cmp_eq_u32_sdwa vcc, v26, v12 src0_sel:WORD_0 src1_sel:DWORD
	v_cndmask_b32_e32 v32, v13, v26, vcc
; %bb.413:
	s_or_b64 exec, exec, s[2:3]
	s_mov_b32 s2, 0x7f800000
	v_and_b32_e32 v12, 0x7f800000, v27
	v_cmp_ne_u32_e32 vcc, s2, v12
                                        ; implicit-def: $vgpr33
	s_and_saveexec_b64 s[2:3], vcc
	s_xor_b64 s[2:3], exec, s[2:3]
; %bb.414:
	v_bfe_u32 v12, v27, 16, 1
	s_movk_i32 s8, 0x7fff
	v_add3_u32 v33, v27, v12, s8
                                        ; implicit-def: $vgpr12_vgpr13_vgpr14_vgpr15_vgpr16_vgpr17_vgpr18_vgpr19_vgpr20_vgpr21_vgpr22_vgpr23_vgpr24_vgpr25_vgpr26_vgpr27
; %bb.415:
	s_andn2_saveexec_b64 s[2:3], s[2:3]
; %bb.416:
	v_mov_b32_e32 v12, 0
	v_or_b32_e32 v13, 0x10000, v27
	v_cmp_eq_u32_sdwa vcc, v27, v12 src0_sel:WORD_0 src1_sel:DWORD
	v_cndmask_b32_e32 v33, v13, v27, vcc
; %bb.417:
	s_or_b64 exec, exec, s[2:3]
	v_lshlrev_b64 v[10:11], 14, v[10:11]
	v_ashrrev_i32_e32 v45, 31, v44
	v_mov_b32_e32 v12, s7
	v_add_co_u32_e32 v13, vcc, s6, v10
	v_addc_co_u32_e32 v12, vcc, v12, v11, vcc
	v_lshlrev_b64 v[10:11], 10, v[44:45]
	v_add_co_u32_e32 v10, vcc, v13, v10
	v_addc_co_u32_e32 v11, vcc, v12, v11, vcc
	v_lshlrev_b32_e32 v12, 1, v46
	v_add_co_u32_e32 v10, vcc, v10, v12
	s_mov_b32 s2, 0x7060302
	v_addc_co_u32_e32 v11, vcc, 0, v11, vcc
	v_perm_b32 v7, v7, v6, s2
	v_perm_b32 v6, v5, v4, s2
	;; [unrolled: 1-line block ×8, first 2 shown]
	global_store_dwordx4 v[10:11], v[4:7], off
	global_store_dwordx4 v[10:11], v[0:3], off offset:16
	s_or_b64 exec, exec, s[0:1]
                                        ; implicit-def: $vgpr10
                                        ; implicit-def: $vgpr44
                                        ; implicit-def: $vgpr46
	s_andn2_saveexec_b64 s[0:1], s[4:5]
	s_cbranch_execnz .LBB6_9
	s_branch .LBB6_10
	.section	.rodata,"a",@progbits
	.p2align	6, 0x0
	.amdhsa_kernel _ZN4vllm21deepseek_v4_fused_ops47fusedDeepseekV4QNormRopeKVRopeQuantInsertKernelIN3c108BFloat16ELi16EEEvPKT_PS4_S6_PhPKlSA_PKffiiiii
		.amdhsa_group_segment_fixed_size 0
		.amdhsa_private_segment_fixed_size 0
		.amdhsa_kernarg_size 336
		.amdhsa_user_sgpr_count 6
		.amdhsa_user_sgpr_private_segment_buffer 1
		.amdhsa_user_sgpr_dispatch_ptr 0
		.amdhsa_user_sgpr_queue_ptr 0
		.amdhsa_user_sgpr_kernarg_segment_ptr 1
		.amdhsa_user_sgpr_dispatch_id 0
		.amdhsa_user_sgpr_flat_scratch_init 0
		.amdhsa_user_sgpr_kernarg_preload_length 0
		.amdhsa_user_sgpr_kernarg_preload_offset 0
		.amdhsa_user_sgpr_private_segment_size 0
		.amdhsa_uses_dynamic_stack 0
		.amdhsa_system_sgpr_private_segment_wavefront_offset 0
		.amdhsa_system_sgpr_workgroup_id_x 1
		.amdhsa_system_sgpr_workgroup_id_y 0
		.amdhsa_system_sgpr_workgroup_id_z 0
		.amdhsa_system_sgpr_workgroup_info 0
		.amdhsa_system_vgpr_workitem_id 0
		.amdhsa_next_free_vgpr 56
		.amdhsa_next_free_sgpr 28
		.amdhsa_accum_offset 56
		.amdhsa_reserve_vcc 1
		.amdhsa_reserve_flat_scratch 0
		.amdhsa_float_round_mode_32 0
		.amdhsa_float_round_mode_16_64 0
		.amdhsa_float_denorm_mode_32 3
		.amdhsa_float_denorm_mode_16_64 3
		.amdhsa_dx10_clamp 1
		.amdhsa_ieee_mode 1
		.amdhsa_fp16_overflow 0
		.amdhsa_tg_split 0
		.amdhsa_exception_fp_ieee_invalid_op 0
		.amdhsa_exception_fp_denorm_src 0
		.amdhsa_exception_fp_ieee_div_zero 0
		.amdhsa_exception_fp_ieee_overflow 0
		.amdhsa_exception_fp_ieee_underflow 0
		.amdhsa_exception_fp_ieee_inexact 0
		.amdhsa_exception_int_div_zero 0
	.end_amdhsa_kernel
	.section	.text._ZN4vllm21deepseek_v4_fused_ops47fusedDeepseekV4QNormRopeKVRopeQuantInsertKernelIN3c108BFloat16ELi16EEEvPKT_PS4_S6_PhPKlSA_PKffiiiii,"axG",@progbits,_ZN4vllm21deepseek_v4_fused_ops47fusedDeepseekV4QNormRopeKVRopeQuantInsertKernelIN3c108BFloat16ELi16EEEvPKT_PS4_S6_PhPKlSA_PKffiiiii,comdat
.Lfunc_end6:
	.size	_ZN4vllm21deepseek_v4_fused_ops47fusedDeepseekV4QNormRopeKVRopeQuantInsertKernelIN3c108BFloat16ELi16EEEvPKT_PS4_S6_PhPKlSA_PKffiiiii, .Lfunc_end6-_ZN4vllm21deepseek_v4_fused_ops47fusedDeepseekV4QNormRopeKVRopeQuantInsertKernelIN3c108BFloat16ELi16EEEvPKT_PS4_S6_PhPKlSA_PKffiiiii
                                        ; -- End function
	.section	.AMDGPU.csdata,"",@progbits
; Kernel info:
; codeLenInByte = 14132
; NumSgprs: 32
; NumVgprs: 56
; NumAgprs: 0
; TotalNumVgprs: 56
; ScratchSize: 0
; MemoryBound: 1
; FloatMode: 240
; IeeeMode: 1
; LDSByteSize: 0 bytes/workgroup (compile time only)
; SGPRBlocks: 3
; VGPRBlocks: 6
; NumSGPRsForWavesPerEU: 32
; NumVGPRsForWavesPerEU: 56
; AccumOffset: 56
; Occupancy: 8
; WaveLimiterHint : 1
; COMPUTE_PGM_RSRC2:SCRATCH_EN: 0
; COMPUTE_PGM_RSRC2:USER_SGPR: 6
; COMPUTE_PGM_RSRC2:TRAP_HANDLER: 0
; COMPUTE_PGM_RSRC2:TGID_X_EN: 1
; COMPUTE_PGM_RSRC2:TGID_Y_EN: 0
; COMPUTE_PGM_RSRC2:TGID_Z_EN: 0
; COMPUTE_PGM_RSRC2:TIDIG_COMP_CNT: 0
; COMPUTE_PGM_RSRC3_GFX90A:ACCUM_OFFSET: 13
; COMPUTE_PGM_RSRC3_GFX90A:TG_SPLIT: 0
	.section	.text._ZN4vllm21deepseek_v4_fused_ops47fusedDeepseekV4QNormRopeKVRopeQuantInsertKernelIN3c108BFloat16ELi32EEEvPKT_PS4_S6_PhPKlSA_PKffiiiii,"axG",@progbits,_ZN4vllm21deepseek_v4_fused_ops47fusedDeepseekV4QNormRopeKVRopeQuantInsertKernelIN3c108BFloat16ELi32EEEvPKT_PS4_S6_PhPKlSA_PKffiiiii,comdat
	.protected	_ZN4vllm21deepseek_v4_fused_ops47fusedDeepseekV4QNormRopeKVRopeQuantInsertKernelIN3c108BFloat16ELi32EEEvPKT_PS4_S6_PhPKlSA_PKffiiiii ; -- Begin function _ZN4vllm21deepseek_v4_fused_ops47fusedDeepseekV4QNormRopeKVRopeQuantInsertKernelIN3c108BFloat16ELi32EEEvPKT_PS4_S6_PhPKlSA_PKffiiiii
	.globl	_ZN4vllm21deepseek_v4_fused_ops47fusedDeepseekV4QNormRopeKVRopeQuantInsertKernelIN3c108BFloat16ELi32EEEvPKT_PS4_S6_PhPKlSA_PKffiiiii
	.p2align	8
	.type	_ZN4vllm21deepseek_v4_fused_ops47fusedDeepseekV4QNormRopeKVRopeQuantInsertKernelIN3c108BFloat16ELi32EEEvPKT_PS4_S6_PhPKlSA_PKffiiiii,@function
_ZN4vllm21deepseek_v4_fused_ops47fusedDeepseekV4QNormRopeKVRopeQuantInsertKernelIN3c108BFloat16ELi32EEEvPKT_PS4_S6_PhPKlSA_PKffiiiii: ; @_ZN4vllm21deepseek_v4_fused_ops47fusedDeepseekV4QNormRopeKVRopeQuantInsertKernelIN3c108BFloat16ELi32EEEvPKT_PS4_S6_PhPKlSA_PKffiiiii
; %bb.0:
	s_load_dword s0, s[4:5], 0x5c
	s_load_dwordx4 s[16:19], s[4:5], 0x38
	v_lshrrev_b32_e32 v1, 5, v0
	s_waitcnt lgkmcnt(0)
	s_bfe_u32 s0, s0, 0xb0005
	s_mul_i32 s6, s6, s0
	v_add_u32_e32 v1, s6, v1
	s_mov_b32 s0, 0x3e0f83e1
	v_mul_hi_i32 v2, v1, s0
	v_lshrrev_b32_e32 v3, 31, v2
	v_ashrrev_i32_e32 v2, 3, v2
	v_add_u32_e32 v10, v2, v3
	v_cmp_gt_i32_e32 vcc, s17, v10
	s_and_saveexec_b64 s[0:1], vcc
	s_cbranch_execz .LBB7_10
; %bb.1:
	s_load_dwordx2 s[20:21], s[4:5], 0x48
	v_lshl_add_u32 v2, v10, 5, v10
	v_sub_u32_e32 v44, v1, v2
	v_cmp_ne_u32_e64 s[0:1], 32, v44
	v_cmp_gt_i32_e64 s[2:3], s18, v10
	v_cmp_eq_u32_e32 vcc, 32, v44
	s_or_b64 s[2:3], s[0:1], s[2:3]
	s_and_b64 exec, exec, s[2:3]
	s_cbranch_execz .LBB7_10
; %bb.2:
	s_load_dwordx2 s[6:7], s[4:5], 0x8
	s_load_dwordx8 s[8:15], s[4:5], 0x18
	v_cmp_gt_i32_e64 s[2:3], s19, v44
	s_xor_b64 s[22:23], s[0:1], -1
	v_and_b32_e32 v47, 31, v0
	s_or_b64 s[22:23], s[22:23], s[2:3]
	v_lshlrev_b32_e32 v46, 4, v47
	v_ashrrev_i32_e32 v11, 31, v10
                                        ; implicit-def: $vgpr9
                                        ; implicit-def: $vgpr5
	s_and_saveexec_b64 s[24:25], s[22:23]
	s_cbranch_execz .LBB7_11
; %bb.3:
                                        ; implicit-def: $vgpr12_vgpr13
	s_and_saveexec_b64 s[2:3], vcc
	s_xor_b64 s[26:27], exec, s[2:3]
	s_cbranch_execz .LBB7_5
; %bb.4:
	s_load_dwordx2 s[2:3], s[4:5], 0x10
	v_lshlrev_b64 v[2:3], 10, v[10:11]
	s_waitcnt lgkmcnt(0)
	v_mov_b32_e32 v1, s3
	v_add_co_u32_e64 v2, s[2:3], s2, v2
	v_addc_co_u32_e64 v1, s[2:3], v1, v3, s[2:3]
	v_lshlrev_b32_e32 v3, 1, v46
	v_add_co_u32_e64 v12, s[2:3], v2, v3
	v_addc_co_u32_e64 v13, s[2:3], 0, v1, s[2:3]
.LBB7_5:
	s_andn2_saveexec_b64 s[26:27], s[26:27]
	s_cbranch_execz .LBB7_7
; %bb.6:
	s_load_dwordx2 s[2:3], s[4:5], 0x0
	v_ashrrev_i32_e32 v45, 31, v44
	v_mad_i64_i32 v[2:3], s[4:5], v10, s19, v[44:45]
	v_lshlrev_b64 v[2:3], 10, v[2:3]
	v_lshl_or_b32 v1, v46, 1, v2
	s_waitcnt lgkmcnt(0)
	v_mov_b32_e32 v2, s3
	v_add_co_u32_e64 v12, s[2:3], s2, v1
	v_addc_co_u32_e64 v13, s[2:3], v2, v3, s[2:3]
.LBB7_7:
	s_or_b64 exec, exec, s[26:27]
	global_load_dwordx4 v[6:9], v[12:13], off
	global_load_dwordx4 v[2:5], v[12:13], off offset:16
	s_or_b64 exec, exec, s[24:25]
	s_and_saveexec_b64 s[2:3], s[22:23]
	s_xor_b64 s[4:5], exec, s[2:3]
	s_cbranch_execnz .LBB7_12
.LBB7_8:
	s_andn2_saveexec_b64 s[0:1], s[4:5]
	s_cbranch_execz .LBB7_10
.LBB7_9:
	v_lshlrev_b64 v[0:1], 15, v[10:11]
	v_ashrrev_i32_e32 v45, 31, v44
	s_waitcnt vmcnt(0) lgkmcnt(0)
	v_mov_b32_e32 v2, s7
	v_add_co_u32_e32 v3, vcc, s6, v0
	v_addc_co_u32_e32 v2, vcc, v2, v1, vcc
	v_lshlrev_b64 v[0:1], 10, v[44:45]
	v_add_co_u32_e32 v0, vcc, v3, v0
	v_addc_co_u32_e32 v1, vcc, v2, v1, vcc
	v_lshlrev_b32_e32 v2, 1, v46
	s_mov_b32 s0, 0
	v_add_co_u32_e32 v4, vcc, v0, v2
	s_mov_b32 s1, s0
	v_addc_co_u32_e32 v5, vcc, 0, v1, vcc
	s_mov_b32 s2, s0
	s_mov_b32 s3, s0
	v_pk_mov_b32 v[0:1], s[0:1], s[0:1] op_sel:[0,1]
	v_pk_mov_b32 v[2:3], s[2:3], s[2:3] op_sel:[0,1]
	global_store_dwordx4 v[4:5], v[0:3], off
	global_store_dwordx4 v[4:5], v[0:3], off offset:16
.LBB7_10:
	s_endpgm
.LBB7_11:
	s_or_b64 exec, exec, s[24:25]
	s_and_saveexec_b64 s[2:3], s[22:23]
	s_xor_b64 s[4:5], exec, s[2:3]
	s_cbranch_execz .LBB7_8
.LBB7_12:
	s_waitcnt vmcnt(1)
	v_and_b32_e32 v13, 0xffff0000, v6
	v_lshlrev_b32_e32 v12, 16, v6
	v_and_b32_e32 v15, 0xffff0000, v7
	v_lshlrev_b32_e32 v14, 16, v7
	;; [unrolled: 2-line block ×4, first 2 shown]
	s_waitcnt vmcnt(0)
	v_and_b32_e32 v21, 0xffff0000, v2
	v_lshlrev_b32_e32 v20, 16, v2
	v_and_b32_e32 v23, 0xffff0000, v3
	v_lshlrev_b32_e32 v22, 16, v3
	;; [unrolled: 2-line block ×4, first 2 shown]
	s_and_saveexec_b64 s[2:3], s[0:1]
	s_cbranch_execz .LBB7_14
; %bb.13:
	v_pk_mul_f32 v[2:3], v[12:13], v[12:13]
	v_pk_mul_f32 v[4:5], v[14:15], v[14:15]
	v_add_f32_e32 v1, v2, v3
	v_add_f32_e32 v1, v4, v1
	v_pk_mul_f32 v[6:7], v[16:17], v[16:17]
	v_add_f32_e32 v1, v5, v1
	v_add_f32_e32 v1, v6, v1
	;; [unrolled: 3-line block ×4, first 2 shown]
	v_pk_mul_f32 v[30:31], v[22:23], v[22:23]
	v_add_f32_e32 v1, v29, v1
	v_mbcnt_lo_u32_b32 v2, -1, 0
	v_add_f32_e32 v1, v30, v1
	v_mbcnt_hi_u32_b32 v2, -1, v2
	v_pk_mul_f32 v[32:33], v[24:25], v[24:25]
	v_add_f32_e32 v1, v31, v1
	v_and_b32_e32 v3, 0x60, v2
	v_add_f32_e32 v1, v32, v1
	v_add_u32_e32 v3, 32, v3
	v_xor_b32_e32 v4, 16, v2
	v_pk_mul_f32 v[34:35], v[26:27], v[26:27]
	v_add_f32_e32 v1, v33, v1
	v_cmp_lt_i32_e64 s[0:1], v4, v3
	v_add_f32_e32 v1, v34, v1
	v_cndmask_b32_e64 v4, v2, v4, s[0:1]
	v_add_f32_e32 v1, v35, v1
	v_lshlrev_b32_e32 v4, 2, v4
	ds_bpermute_b32 v4, v4, v1
	s_waitcnt lgkmcnt(0)
	v_add_f32_e32 v1, v1, v4
	v_xor_b32_e32 v4, 8, v2
	v_cmp_lt_i32_e64 s[0:1], v4, v3
	v_cndmask_b32_e64 v4, v2, v4, s[0:1]
	v_lshlrev_b32_e32 v4, 2, v4
	ds_bpermute_b32 v4, v4, v1
	s_waitcnt lgkmcnt(0)
	v_add_f32_e32 v1, v1, v4
	v_xor_b32_e32 v4, 4, v2
	v_cmp_lt_i32_e64 s[0:1], v4, v3
	v_cndmask_b32_e64 v4, v2, v4, s[0:1]
	;; [unrolled: 7-line block ×4, first 2 shown]
	v_lshlrev_b32_e32 v2, 2, v2
	ds_bpermute_b32 v2, v2, v1
	s_mov_b32 s0, 0x800000
	s_waitcnt lgkmcnt(0)
	v_add_f32_e32 v1, v1, v2
	v_mov_b32_e32 v2, s16
	v_fmac_f32_e32 v2, 0x3b000000, v1
	v_mul_f32_e32 v1, 0x4b800000, v2
	v_cmp_gt_f32_e64 s[0:1], s0, v2
	v_cndmask_b32_e64 v1, v2, v1, s[0:1]
	v_rsq_f32_e32 v1, v1
	v_mul_f32_e32 v2, 0x45800000, v1
	v_cndmask_b32_e64 v2, v1, v2, s[0:1]
	v_pk_mul_f32 v[26:27], v[2:3], v[26:27] op_sel_hi:[0,1]
	v_pk_mul_f32 v[24:25], v[2:3], v[24:25] op_sel_hi:[0,1]
	;; [unrolled: 1-line block ×8, first 2 shown]
.LBB7_14:
	s_or_b64 exec, exec, s[2:3]
	v_cmp_gt_u32_e64 s[0:1], 28, v47
	v_cmp_lt_u32_e64 s[2:3], 27, v47
	s_and_saveexec_b64 s[16:17], s[2:3]
	s_cbranch_execz .LBB7_18
; %bb.15:
	v_lshlrev_b64 v[2:3], 3, v[10:11]
	s_waitcnt lgkmcnt(0)
	v_mov_b32_e32 v1, s13
	v_add_co_u32_e64 v2, s[2:3], s12, v2
	v_addc_co_u32_e64 v3, s[2:3], v1, v3, s[2:3]
	global_load_dwordx2 v[2:3], v[2:3], off
	v_add_u32_e32 v4, 0xfffffe40, v46
	v_mov_b32_e32 v1, s15
	v_mov_b32_e32 v5, 0
	v_lshrrev_b32_e32 v4, 1, v4
	v_lshlrev_b64 v[4:5], 2, v[4:5]
	s_waitcnt vmcnt(0)
	v_lshlrev_b64 v[2:3], 8, v[2:3]
	v_add_co_u32_e64 v2, s[2:3], s14, v2
	v_addc_co_u32_e64 v1, s[2:3], v1, v3, s[2:3]
	v_add_co_u32_e64 v28, s[2:3], v2, v4
	v_addc_co_u32_e64 v29, s[2:3], v1, v5, s[2:3]
	global_load_dwordx4 v[2:5], v[28:29], off offset:128
	global_load_dwordx4 v[6:9], v[28:29], off offset:144
	global_load_dwordx4 v[48:51], v[28:29], off
	global_load_dwordx4 v[52:55], v[28:29], off offset:16
	s_waitcnt vmcnt(3)
	v_mul_f32_e32 v1, v13, v2
	v_mul_f32_e32 v29, v12, v2
	;; [unrolled: 1-line block ×8, first 2 shown]
	s_waitcnt vmcnt(2)
	v_mul_f32_e32 v5, v21, v6
	v_mul_f32_e32 v37, v20, v6
	;; [unrolled: 1-line block ×8, first 2 shown]
	s_waitcnt vmcnt(1)
	v_fma_f32 v28, v12, v48, -v1
	v_fmac_f32_e32 v29, v13, v48
	v_fma_f32 v30, v14, v49, -v2
	v_fmac_f32_e32 v31, v15, v49
	;; [unrolled: 2-line block ×4, first 2 shown]
	s_waitcnt vmcnt(0)
	v_fma_f32 v36, v20, v52, -v5
	v_fmac_f32_e32 v37, v21, v52
	v_fma_f32 v38, v22, v53, -v6
	v_fmac_f32_e32 v39, v23, v53
	;; [unrolled: 2-line block ×4, first 2 shown]
	v_pk_mov_b32 v[12:13], v[28:29], v[28:29] op_sel:[0,1]
	v_pk_mov_b32 v[14:15], v[30:31], v[30:31] op_sel:[0,1]
	;; [unrolled: 1-line block ×8, first 2 shown]
	s_or_b64 exec, exec, s[16:17]
	s_and_saveexec_b64 s[2:3], vcc
	s_xor_b64 s[12:13], exec, s[2:3]
	s_cbranch_execnz .LBB7_19
.LBB7_16:
	s_andn2_saveexec_b64 s[0:1], s[12:13]
	s_cbranch_execnz .LBB7_353
.LBB7_17:
	s_or_b64 exec, exec, s[0:1]
                                        ; implicit-def: $vgpr10
                                        ; implicit-def: $vgpr44
                                        ; implicit-def: $vgpr46
	s_andn2_saveexec_b64 s[0:1], s[4:5]
	s_cbranch_execnz .LBB7_9
	s_branch .LBB7_10
.LBB7_18:
	s_or_b64 exec, exec, s[16:17]
	s_and_saveexec_b64 s[2:3], vcc
	s_waitcnt lgkmcnt(0)
	s_xor_b64 s[12:13], exec, s[2:3]
	s_cbranch_execz .LBB7_16
.LBB7_19:
	v_lshlrev_b64 v[2:3], 3, v[10:11]
	v_mov_b32_e32 v1, s11
	v_add_co_u32_e32 v2, vcc, s10, v2
	v_addc_co_u32_e32 v3, vcc, v1, v3, vcc
	global_load_dwordx2 v[30:31], v[2:3], off
	s_waitcnt vmcnt(0)
	v_cmp_lt_i64_e32 vcc, -1, v[30:31]
	s_and_saveexec_b64 s[10:11], vcc
                                        ; implicit-def: $vgpr11
	s_cbranch_execz .LBB7_352
; %bb.20:
	s_ashr_i32 s22, s20, 31
	v_or_b32_e32 v3, s22, v31
	v_mov_b32_e32 v2, 0
	v_cmp_ne_u64_e32 vcc, 0, v[2:3]
                                        ; implicit-def: $vgpr32_vgpr33
	s_and_saveexec_b64 s[2:3], vcc
	s_xor_b64 s[14:15], exec, s[2:3]
	s_cbranch_execz .LBB7_22
; %bb.21:
	s_add_u32 s2, s20, s22
	s_mov_b32 s16, s22
	s_mov_b32 s17, s22
	s_addc_u32 s3, s22, s22
	s_xor_b64 s[18:19], s[2:3], s[16:17]
	v_cvt_f32_u32_e32 v1, s18
	v_cvt_f32_u32_e32 v2, s19
	s_sub_u32 s2, 0, s18
	s_subb_u32 s3, 0, s19
	v_madmk_f32 v1, v2, 0x4f800000, v1
	v_rcp_f32_e32 v1, v1
	v_mul_f32_e32 v1, 0x5f7ffffc, v1
	v_mul_f32_e32 v2, 0x2f800000, v1
	v_trunc_f32_e32 v2, v2
	v_madmk_f32 v1, v2, 0xcf800000, v1
	v_cvt_u32_f32_e32 v2, v2
	v_cvt_u32_f32_e32 v1, v1
	v_mul_lo_u32 v3, s2, v2
	v_mul_hi_u32 v5, s2, v1
	v_mul_lo_u32 v4, s3, v1
	v_add_u32_e32 v3, v5, v3
	v_mul_lo_u32 v6, s2, v1
	v_add_u32_e32 v3, v3, v4
	v_mul_lo_u32 v5, v1, v3
	v_mul_hi_u32 v7, v1, v6
	v_mul_hi_u32 v4, v1, v3
	v_add_co_u32_e32 v5, vcc, v7, v5
	v_addc_co_u32_e32 v4, vcc, 0, v4, vcc
	v_mul_hi_u32 v8, v2, v6
	v_mul_lo_u32 v6, v2, v6
	v_add_co_u32_e32 v5, vcc, v5, v6
	v_mul_hi_u32 v7, v2, v3
	v_addc_co_u32_e32 v4, vcc, v4, v8, vcc
	v_addc_co_u32_e32 v5, vcc, 0, v7, vcc
	v_mul_lo_u32 v3, v2, v3
	v_add_co_u32_e32 v3, vcc, v4, v3
	v_addc_co_u32_e32 v4, vcc, 0, v5, vcc
	v_add_co_u32_e32 v1, vcc, v1, v3
	v_addc_co_u32_e32 v2, vcc, v2, v4, vcc
	v_mul_lo_u32 v3, s2, v2
	v_mul_hi_u32 v4, s2, v1
	v_add_u32_e32 v3, v4, v3
	v_mul_lo_u32 v4, s3, v1
	v_add_u32_e32 v3, v3, v4
	v_mul_lo_u32 v5, s2, v1
	v_mul_hi_u32 v6, v2, v5
	v_mul_lo_u32 v7, v2, v5
	v_mul_lo_u32 v9, v1, v3
	v_mul_hi_u32 v5, v1, v5
	v_mul_hi_u32 v8, v1, v3
	v_add_co_u32_e32 v5, vcc, v5, v9
	v_addc_co_u32_e32 v8, vcc, 0, v8, vcc
	v_add_co_u32_e32 v5, vcc, v5, v7
	v_mul_hi_u32 v4, v2, v3
	v_addc_co_u32_e32 v5, vcc, v8, v6, vcc
	v_addc_co_u32_e32 v4, vcc, 0, v4, vcc
	v_mul_lo_u32 v3, v2, v3
	v_add_co_u32_e32 v3, vcc, v5, v3
	v_addc_co_u32_e32 v4, vcc, 0, v4, vcc
	v_add_co_u32_e32 v1, vcc, v1, v3
	v_addc_co_u32_e32 v4, vcc, v2, v4, vcc
	v_ashrrev_i32_e32 v6, 31, v31
	v_add_co_u32_e32 v2, vcc, v30, v6
	v_addc_co_u32_e32 v3, vcc, v31, v6, vcc
	v_xor_b32_e32 v8, v2, v6
	v_xor_b32_e32 v7, v3, v6
	v_mad_u64_u32 v[2:3], s[2:3], v8, v4, 0
	v_mul_hi_u32 v5, v8, v1
	v_add_co_u32_e32 v9, vcc, v5, v2
	v_addc_co_u32_e32 v10, vcc, 0, v3, vcc
	v_mad_u64_u32 v[2:3], s[2:3], v7, v4, 0
	v_mad_u64_u32 v[4:5], s[2:3], v7, v1, 0
	v_add_co_u32_e32 v1, vcc, v9, v4
	v_addc_co_u32_e32 v1, vcc, v10, v5, vcc
	v_addc_co_u32_e32 v3, vcc, 0, v3, vcc
	v_add_co_u32_e32 v1, vcc, v1, v2
	v_addc_co_u32_e32 v4, vcc, 0, v3, vcc
	v_mul_lo_u32 v5, s19, v1
	v_mul_lo_u32 v9, s18, v4
	v_mad_u64_u32 v[2:3], s[2:3], s18, v1, 0
	v_add3_u32 v3, v3, v9, v5
	v_sub_u32_e32 v5, v7, v3
	v_mov_b32_e32 v9, s19
	v_sub_co_u32_e32 v2, vcc, v8, v2
	v_subb_co_u32_e64 v5, s[2:3], v5, v9, vcc
	v_subrev_co_u32_e64 v8, s[2:3], s18, v2
	v_subbrev_co_u32_e64 v5, s[2:3], 0, v5, s[2:3]
	v_cmp_le_u32_e64 s[2:3], s19, v5
	v_cndmask_b32_e64 v9, 0, -1, s[2:3]
	v_cmp_le_u32_e64 s[2:3], s18, v8
	v_cndmask_b32_e64 v8, 0, -1, s[2:3]
	v_cmp_eq_u32_e64 s[2:3], s19, v5
	v_cndmask_b32_e64 v5, v9, v8, s[2:3]
	v_add_co_u32_e64 v8, s[2:3], 2, v1
	v_subb_co_u32_e32 v3, vcc, v7, v3, vcc
	v_addc_co_u32_e64 v9, s[2:3], 0, v4, s[2:3]
	v_cmp_le_u32_e32 vcc, s19, v3
	v_add_co_u32_e64 v10, s[2:3], 1, v1
	v_cndmask_b32_e64 v7, 0, -1, vcc
	v_cmp_le_u32_e32 vcc, s18, v2
	v_addc_co_u32_e64 v11, s[2:3], 0, v4, s[2:3]
	v_cndmask_b32_e64 v2, 0, -1, vcc
	v_cmp_eq_u32_e32 vcc, s19, v3
	v_cmp_ne_u32_e64 s[2:3], 0, v5
	v_cndmask_b32_e32 v2, v7, v2, vcc
	v_cndmask_b32_e64 v5, v11, v9, s[2:3]
	v_cmp_ne_u32_e32 vcc, 0, v2
	v_cndmask_b32_e64 v3, v10, v8, s[2:3]
	v_cndmask_b32_e32 v2, v4, v5, vcc
	v_cndmask_b32_e32 v1, v1, v3, vcc
	v_xor_b32_e32 v4, s16, v6
	v_xor_b32_e32 v3, s17, v6
	v_xor_b32_e32 v1, v1, v4
	v_xor_b32_e32 v2, v2, v3
	v_sub_co_u32_e32 v32, vcc, v1, v4
	v_subb_co_u32_e32 v33, vcc, v2, v3, vcc
.LBB7_22:
	s_andn2_saveexec_b64 s[2:3], s[14:15]
	s_cbranch_execz .LBB7_24
; %bb.23:
	v_cvt_f32_u32_e32 v1, s20
	s_sub_i32 s14, 0, s20
	v_mov_b32_e32 v33, 0
	v_rcp_iflag_f32_e32 v1, v1
	v_mul_f32_e32 v1, 0x4f7ffffe, v1
	v_cvt_u32_f32_e32 v1, v1
	v_mul_lo_u32 v2, s14, v1
	v_mul_hi_u32 v2, v1, v2
	v_add_u32_e32 v1, v1, v2
	v_mul_hi_u32 v1, v30, v1
	v_mul_lo_u32 v2, v1, s20
	v_sub_u32_e32 v2, v30, v2
	v_add_u32_e32 v3, 1, v1
	v_subrev_u32_e32 v4, s20, v2
	v_cmp_le_u32_e32 vcc, s20, v2
	v_cndmask_b32_e32 v2, v2, v4, vcc
	v_cndmask_b32_e32 v1, v1, v3, vcc
	v_add_u32_e32 v3, 1, v1
	v_cmp_le_u32_e32 vcc, s20, v2
	v_cndmask_b32_e32 v32, v1, v3, vcc
.LBB7_24:
	s_or_b64 exec, exec, s[2:3]
	s_mov_b32 s2, 0x7f800000
	v_and_b32_e32 v1, 0x7f800000, v12
	v_cmp_ne_u32_e32 vcc, s2, v1
                                        ; implicit-def: $vgpr29
	s_and_saveexec_b64 s[2:3], vcc
	s_xor_b64 s[2:3], exec, s[2:3]
; %bb.25:
	v_bfe_u32 v1, v12, 16, 1
	s_movk_i32 s14, 0x7fff
	v_add3_u32 v29, v12, v1, s14
; %bb.26:
	s_andn2_saveexec_b64 s[2:3], s[2:3]
; %bb.27:
	v_mov_b32_e32 v1, 0
	v_or_b32_e32 v2, 0x10000, v12
	v_cmp_eq_u32_sdwa vcc, v12, v1 src0_sel:WORD_0 src1_sel:DWORD
	v_cndmask_b32_e32 v29, v2, v12, vcc
; %bb.28:
	s_or_b64 exec, exec, s[2:3]
	s_mov_b32 s2, 0x7f800000
	v_and_b32_e32 v1, 0x7f800000, v13
	v_and_b32_e32 v28, 0xffff0000, v29
	v_cmp_ne_u32_e32 vcc, s2, v1
                                        ; implicit-def: $vgpr34
	s_and_saveexec_b64 s[2:3], vcc
	s_xor_b64 s[2:3], exec, s[2:3]
; %bb.29:
	v_bfe_u32 v1, v13, 16, 1
	s_movk_i32 s14, 0x7fff
	v_add3_u32 v34, v13, v1, s14
; %bb.30:
	s_andn2_saveexec_b64 s[2:3], s[2:3]
; %bb.31:
	v_mov_b32_e32 v1, 0
	v_or_b32_e32 v2, 0x10000, v13
	v_cmp_eq_u32_sdwa vcc, v13, v1 src0_sel:WORD_0 src1_sel:DWORD
	v_cndmask_b32_e32 v34, v2, v13, vcc
; %bb.32:
	s_or_b64 exec, exec, s[2:3]
	s_mov_b32 s2, 0x7f800000
	v_and_b32_e32 v2, 0x7f800000, v14
	v_and_b32_e32 v1, 0xffff0000, v34
	v_cmp_ne_u32_e32 vcc, s2, v2
                                        ; implicit-def: $vgpr35
	s_and_saveexec_b64 s[2:3], vcc
	s_xor_b64 s[2:3], exec, s[2:3]
; %bb.33:
	v_bfe_u32 v2, v14, 16, 1
	s_movk_i32 s14, 0x7fff
	v_add3_u32 v35, v14, v2, s14
; %bb.34:
	s_andn2_saveexec_b64 s[2:3], s[2:3]
; %bb.35:
	v_mov_b32_e32 v2, 0
	v_or_b32_e32 v3, 0x10000, v14
	v_cmp_eq_u32_sdwa vcc, v14, v2 src0_sel:WORD_0 src1_sel:DWORD
	v_cndmask_b32_e32 v35, v3, v14, vcc
; %bb.36:
	s_or_b64 exec, exec, s[2:3]
	s_mov_b32 s2, 0x7f800000
	v_and_b32_e32 v3, 0x7f800000, v15
	v_and_b32_e32 v2, 0xffff0000, v35
	v_cmp_ne_u32_e32 vcc, s2, v3
                                        ; implicit-def: $vgpr36
	s_and_saveexec_b64 s[2:3], vcc
	s_xor_b64 s[2:3], exec, s[2:3]
; %bb.37:
	v_bfe_u32 v3, v15, 16, 1
	s_movk_i32 s14, 0x7fff
	v_add3_u32 v36, v15, v3, s14
; %bb.38:
	s_andn2_saveexec_b64 s[2:3], s[2:3]
; %bb.39:
	v_mov_b32_e32 v3, 0
	v_or_b32_e32 v4, 0x10000, v15
	v_cmp_eq_u32_sdwa vcc, v15, v3 src0_sel:WORD_0 src1_sel:DWORD
	v_cndmask_b32_e32 v36, v4, v15, vcc
; %bb.40:
	s_or_b64 exec, exec, s[2:3]
	s_mov_b32 s2, 0x7f800000
	v_and_b32_e32 v4, 0x7f800000, v16
	v_and_b32_e32 v3, 0xffff0000, v36
	v_cmp_ne_u32_e32 vcc, s2, v4
                                        ; implicit-def: $vgpr37
	s_and_saveexec_b64 s[2:3], vcc
	s_xor_b64 s[2:3], exec, s[2:3]
; %bb.41:
	v_bfe_u32 v4, v16, 16, 1
	s_movk_i32 s14, 0x7fff
	v_add3_u32 v37, v16, v4, s14
; %bb.42:
	s_andn2_saveexec_b64 s[2:3], s[2:3]
; %bb.43:
	v_mov_b32_e32 v4, 0
	v_or_b32_e32 v5, 0x10000, v16
	v_cmp_eq_u32_sdwa vcc, v16, v4 src0_sel:WORD_0 src1_sel:DWORD
	v_cndmask_b32_e32 v37, v5, v16, vcc
; %bb.44:
	s_or_b64 exec, exec, s[2:3]
	s_mov_b32 s2, 0x7f800000
	v_and_b32_e32 v5, 0x7f800000, v17
	v_and_b32_e32 v4, 0xffff0000, v37
	v_cmp_ne_u32_e32 vcc, s2, v5
                                        ; implicit-def: $vgpr38
	s_and_saveexec_b64 s[2:3], vcc
	s_xor_b64 s[2:3], exec, s[2:3]
; %bb.45:
	v_bfe_u32 v5, v17, 16, 1
	s_movk_i32 s14, 0x7fff
	v_add3_u32 v38, v17, v5, s14
; %bb.46:
	s_andn2_saveexec_b64 s[2:3], s[2:3]
; %bb.47:
	v_mov_b32_e32 v5, 0
	v_or_b32_e32 v6, 0x10000, v17
	v_cmp_eq_u32_sdwa vcc, v17, v5 src0_sel:WORD_0 src1_sel:DWORD
	v_cndmask_b32_e32 v38, v6, v17, vcc
; %bb.48:
	s_or_b64 exec, exec, s[2:3]
	s_mov_b32 s2, 0x7f800000
	v_and_b32_e32 v6, 0x7f800000, v18
	v_and_b32_e32 v5, 0xffff0000, v38
	v_cmp_ne_u32_e32 vcc, s2, v6
                                        ; implicit-def: $vgpr39
	s_and_saveexec_b64 s[2:3], vcc
	s_xor_b64 s[2:3], exec, s[2:3]
; %bb.49:
	v_bfe_u32 v6, v18, 16, 1
	s_movk_i32 s14, 0x7fff
	v_add3_u32 v39, v18, v6, s14
; %bb.50:
	s_andn2_saveexec_b64 s[2:3], s[2:3]
; %bb.51:
	v_mov_b32_e32 v6, 0
	v_or_b32_e32 v7, 0x10000, v18
	v_cmp_eq_u32_sdwa vcc, v18, v6 src0_sel:WORD_0 src1_sel:DWORD
	v_cndmask_b32_e32 v39, v7, v18, vcc
; %bb.52:
	s_or_b64 exec, exec, s[2:3]
	s_mov_b32 s2, 0x7f800000
	v_and_b32_e32 v7, 0x7f800000, v19
	v_and_b32_e32 v6, 0xffff0000, v39
	v_cmp_ne_u32_e32 vcc, s2, v7
                                        ; implicit-def: $vgpr40
	s_and_saveexec_b64 s[2:3], vcc
	s_xor_b64 s[2:3], exec, s[2:3]
; %bb.53:
	v_bfe_u32 v7, v19, 16, 1
	s_movk_i32 s14, 0x7fff
	v_add3_u32 v40, v19, v7, s14
; %bb.54:
	s_andn2_saveexec_b64 s[2:3], s[2:3]
; %bb.55:
	v_mov_b32_e32 v7, 0
	v_or_b32_e32 v8, 0x10000, v19
	v_cmp_eq_u32_sdwa vcc, v19, v7 src0_sel:WORD_0 src1_sel:DWORD
	v_cndmask_b32_e32 v40, v8, v19, vcc
; %bb.56:
	s_or_b64 exec, exec, s[2:3]
	s_mov_b32 s2, 0x7f800000
	v_and_b32_e32 v8, 0x7f800000, v20
	v_and_b32_e32 v7, 0xffff0000, v40
	v_cmp_ne_u32_e32 vcc, s2, v8
                                        ; implicit-def: $vgpr41
	s_and_saveexec_b64 s[2:3], vcc
	s_xor_b64 s[2:3], exec, s[2:3]
; %bb.57:
	v_bfe_u32 v8, v20, 16, 1
	s_movk_i32 s14, 0x7fff
	v_add3_u32 v41, v20, v8, s14
; %bb.58:
	s_andn2_saveexec_b64 s[2:3], s[2:3]
; %bb.59:
	v_mov_b32_e32 v8, 0
	v_or_b32_e32 v9, 0x10000, v20
	v_cmp_eq_u32_sdwa vcc, v20, v8 src0_sel:WORD_0 src1_sel:DWORD
	v_cndmask_b32_e32 v41, v9, v20, vcc
; %bb.60:
	s_or_b64 exec, exec, s[2:3]
	s_mov_b32 s2, 0x7f800000
	v_and_b32_e32 v9, 0x7f800000, v21
	v_and_b32_e32 v8, 0xffff0000, v41
	v_cmp_ne_u32_e32 vcc, s2, v9
                                        ; implicit-def: $vgpr42
	s_and_saveexec_b64 s[2:3], vcc
	s_xor_b64 s[2:3], exec, s[2:3]
; %bb.61:
	v_bfe_u32 v9, v21, 16, 1
	s_movk_i32 s14, 0x7fff
	v_add3_u32 v42, v21, v9, s14
; %bb.62:
	s_andn2_saveexec_b64 s[2:3], s[2:3]
; %bb.63:
	v_mov_b32_e32 v9, 0
	v_or_b32_e32 v10, 0x10000, v21
	v_cmp_eq_u32_sdwa vcc, v21, v9 src0_sel:WORD_0 src1_sel:DWORD
	v_cndmask_b32_e32 v42, v10, v21, vcc
; %bb.64:
	s_or_b64 exec, exec, s[2:3]
	s_mov_b32 s2, 0x7f800000
	v_and_b32_e32 v10, 0x7f800000, v22
	v_and_b32_e32 v9, 0xffff0000, v42
	v_cmp_ne_u32_e32 vcc, s2, v10
                                        ; implicit-def: $vgpr43
	s_and_saveexec_b64 s[2:3], vcc
	s_xor_b64 s[2:3], exec, s[2:3]
; %bb.65:
	v_bfe_u32 v10, v22, 16, 1
	s_movk_i32 s14, 0x7fff
	v_add3_u32 v43, v22, v10, s14
; %bb.66:
	s_andn2_saveexec_b64 s[2:3], s[2:3]
; %bb.67:
	v_mov_b32_e32 v10, 0
	v_or_b32_e32 v11, 0x10000, v22
	v_cmp_eq_u32_sdwa vcc, v22, v10 src0_sel:WORD_0 src1_sel:DWORD
	v_cndmask_b32_e32 v43, v11, v22, vcc
; %bb.68:
	s_or_b64 exec, exec, s[2:3]
	s_mov_b32 s2, 0x7f800000
	v_and_b32_e32 v11, 0x7f800000, v23
	v_and_b32_e32 v10, 0xffff0000, v43
	v_cmp_ne_u32_e32 vcc, s2, v11
                                        ; implicit-def: $vgpr44
	s_and_saveexec_b64 s[2:3], vcc
	s_xor_b64 s[2:3], exec, s[2:3]
; %bb.69:
	v_bfe_u32 v11, v23, 16, 1
	s_movk_i32 s14, 0x7fff
	v_add3_u32 v44, v23, v11, s14
; %bb.70:
	s_andn2_saveexec_b64 s[2:3], s[2:3]
; %bb.71:
	v_mov_b32_e32 v11, 0
	v_or_b32_e32 v12, 0x10000, v23
	v_cmp_eq_u32_sdwa vcc, v23, v11 src0_sel:WORD_0 src1_sel:DWORD
	v_cndmask_b32_e32 v44, v12, v23, vcc
; %bb.72:
	s_or_b64 exec, exec, s[2:3]
	s_mov_b32 s2, 0x7f800000
	v_and_b32_e32 v12, 0x7f800000, v24
	v_and_b32_e32 v11, 0xffff0000, v44
	v_cmp_ne_u32_e32 vcc, s2, v12
                                        ; implicit-def: $vgpr45
	s_and_saveexec_b64 s[2:3], vcc
	s_xor_b64 s[2:3], exec, s[2:3]
; %bb.73:
	v_bfe_u32 v12, v24, 16, 1
	s_movk_i32 s14, 0x7fff
	v_add3_u32 v45, v24, v12, s14
; %bb.74:
	s_andn2_saveexec_b64 s[2:3], s[2:3]
; %bb.75:
	v_mov_b32_e32 v12, 0
	v_or_b32_e32 v13, 0x10000, v24
	v_cmp_eq_u32_sdwa vcc, v24, v12 src0_sel:WORD_0 src1_sel:DWORD
	v_cndmask_b32_e32 v45, v13, v24, vcc
; %bb.76:
	s_or_b64 exec, exec, s[2:3]
	s_mov_b32 s2, 0x7f800000
	v_and_b32_e32 v12, 0x7f800000, v25
	v_cmp_ne_u32_e32 vcc, s2, v12
                                        ; implicit-def: $vgpr48
	s_and_saveexec_b64 s[2:3], vcc
	s_xor_b64 s[2:3], exec, s[2:3]
; %bb.77:
	v_bfe_u32 v12, v25, 16, 1
	s_movk_i32 s14, 0x7fff
	v_add3_u32 v48, v25, v12, s14
; %bb.78:
	s_andn2_saveexec_b64 s[2:3], s[2:3]
; %bb.79:
	v_mov_b32_e32 v12, 0
	v_or_b32_e32 v13, 0x10000, v25
	v_cmp_eq_u32_sdwa vcc, v25, v12 src0_sel:WORD_0 src1_sel:DWORD
	v_cndmask_b32_e32 v48, v13, v25, vcc
; %bb.80:
	s_or_b64 exec, exec, s[2:3]
	s_mov_b32 s2, 0x7f800000
	v_and_b32_e32 v12, 0x7f800000, v26
	v_cmp_ne_u32_e32 vcc, s2, v12
                                        ; implicit-def: $vgpr49
	s_and_saveexec_b64 s[2:3], vcc
	s_xor_b64 s[2:3], exec, s[2:3]
; %bb.81:
	v_bfe_u32 v12, v26, 16, 1
	s_movk_i32 s14, 0x7fff
	v_add3_u32 v49, v26, v12, s14
; %bb.82:
	s_andn2_saveexec_b64 s[2:3], s[2:3]
; %bb.83:
	v_mov_b32_e32 v12, 0
	v_or_b32_e32 v13, 0x10000, v26
	v_cmp_eq_u32_sdwa vcc, v26, v12 src0_sel:WORD_0 src1_sel:DWORD
	v_cndmask_b32_e32 v49, v13, v26, vcc
; %bb.84:
	s_or_b64 exec, exec, s[2:3]
	s_mov_b32 s2, 0x7f800000
	v_and_b32_e32 v12, 0x7f800000, v27
	v_cmp_ne_u32_e32 vcc, s2, v12
                                        ; implicit-def: $vgpr50
	s_and_saveexec_b64 s[2:3], vcc
	s_xor_b64 s[2:3], exec, s[2:3]
; %bb.85:
	v_bfe_u32 v12, v27, 16, 1
	s_movk_i32 s14, 0x7fff
	v_add3_u32 v50, v27, v12, s14
                                        ; implicit-def: $vgpr12_vgpr13_vgpr14_vgpr15_vgpr16_vgpr17_vgpr18_vgpr19_vgpr20_vgpr21_vgpr22_vgpr23_vgpr24_vgpr25_vgpr26_vgpr27
; %bb.86:
	s_andn2_saveexec_b64 s[2:3], s[2:3]
; %bb.87:
	v_mov_b32_e32 v12, 0
	v_or_b32_e32 v13, 0x10000, v27
	v_cmp_eq_u32_sdwa vcc, v27, v12 src0_sel:WORD_0 src1_sel:DWORD
	v_cndmask_b32_e32 v50, v13, v27, vcc
; %bb.88:
	s_or_b64 exec, exec, s[2:3]
	v_mul_lo_u32 v14, v33, s20
	v_mul_lo_u32 v15, v32, s22
	v_mad_u64_u32 v[12:13], s[2:3], v32, s20, 0
	v_add3_u32 v13, v13, v15, v14
	v_sub_co_u32_e32 v14, vcc, v30, v12
	v_subb_co_u32_e32 v15, vcc, v31, v13, vcc
	s_ashr_i32 s14, s21, 31
	v_pk_mov_b32 v[12:13], s[8:9], s[8:9] op_sel:[0,1]
	v_mad_u64_u32 v[16:17], s[2:3], v32, s21, v[12:13]
	v_mul_lo_u32 v12, v33, s21
	v_mul_lo_u32 v13, v32, s14
	v_add3_u32 v17, v12, v17, v13
	s_movk_i32 s8, 0x240
	v_mad_u64_u32 v[12:13], s[2:3], v14, s8, v[16:17]
	v_mov_b32_e32 v18, v13
	v_mad_u64_u32 v[18:19], s[2:3], v15, s8, v[18:19]
	v_mov_b32_e32 v13, v18
	v_max3_f32 v18, |v28|, 0, |v1|
	v_max3_f32 v18, v18, |v2|, |v3|
	v_mbcnt_lo_u32_b32 v19, -1, 0
	v_max3_f32 v18, v18, |v4|, |v5|
	v_mbcnt_hi_u32_b32 v19, -1, v19
	v_max3_f32 v18, v18, |v6|, |v7|
	v_and_b32_e32 v20, 64, v19
	v_max3_f32 v18, v18, |v8|, |v9|
	v_add_u32_e32 v20, 64, v20
	v_xor_b32_e32 v21, 1, v19
	v_max3_f32 v18, v18, |v10|, |v11|
	v_and_b32_e32 v26, 0xffff0000, v48
	v_and_b32_e32 v27, 0xffff0000, v45
	v_cmp_lt_i32_e32 vcc, v21, v20
	v_max3_f32 v18, v18, |v27|, |v26|
	v_and_b32_e32 v24, 0xffff0000, v49
	v_and_b32_e32 v22, 0xffff0000, v50
	v_cndmask_b32_e32 v21, v19, v21, vcc
	v_max3_f32 v18, v18, |v24|, |v22|
	v_lshlrev_b32_e32 v21, 2, v21
	ds_bpermute_b32 v21, v21, v18
	s_waitcnt lgkmcnt(0)
	v_max_f32_e32 v21, v21, v21
	v_max_f32_e32 v18, v18, v21
	v_xor_b32_e32 v21, 2, v19
	v_cmp_lt_i32_e32 vcc, v21, v20
	v_cndmask_b32_e32 v19, v19, v21, vcc
	v_lshlrev_b32_e32 v19, 2, v19
	ds_bpermute_b32 v19, v19, v18
	s_and_saveexec_b64 s[2:3], s[0:1]
	s_xor_b64 s[2:3], exec, s[2:3]
	s_cbranch_execz .LBB7_350
; %bb.89:
	s_mov_b32 s0, 0x38d1b717
	s_waitcnt lgkmcnt(0)
	v_max3_f32 v18, v18, v19, s0
	s_mov_b32 s8, 0x43e00000
	v_div_scale_f32 v19, s[0:1], s8, s8, v18
	v_rcp_f32_e32 v20, v19
	s_mov_b32 s0, 0x800000
	v_fma_f32 v21, -v19, v20, 1.0
	v_fmac_f32_e32 v20, v21, v20
	v_div_scale_f32 v21, vcc, v18, s8, v18
	v_mul_f32_e32 v23, v21, v20
	v_fma_f32 v25, -v19, v23, v21
	v_fmac_f32_e32 v23, v25, v20
	v_fma_f32 v19, -v19, v23, v21
	v_div_fmas_f32 v19, v19, v20, v23
	v_div_fixup_f32 v18, v19, s8, v18
	v_mov_b32_e32 v19, 0x4f800000
	v_cmp_gt_f32_e32 vcc, s0, v18
	v_cndmask_b32_e32 v19, 1.0, v19, vcc
	v_mul_f32_e32 v18, v18, v19
	v_log_f32_e32 v18, v18
	v_mov_b32_e32 v19, 0x42000000
	v_cndmask_b32_e32 v19, 0, v19, vcc
	s_mov_b32 s0, 0x42fc0000
	v_sub_f32_e32 v18, v18, v19
	v_ceil_f32_e32 v20, v18
	v_mov_b32_e32 v18, 0x42800000
	v_cmp_lt_f32_e32 vcc, s0, v20
	v_cndmask_b32_e32 v18, 0, v18, vcc
	v_sub_f32_e32 v18, v18, v20
	v_exp_f32_e32 v18, v18
	v_mov_b32_e32 v19, 0x1f800000
	v_cndmask_b32_e32 v19, 1.0, v19, vcc
	s_movk_i32 s0, 0x80
	v_mul_f32_e32 v23, v18, v19
	v_mul_f32_e32 v18, v23, v28
	v_max_f32_e32 v18, 0xc3e00000, v18
	v_min_f32_e32 v28, 0x43e00000, v18
	v_mov_b32_e32 v19, 0
	v_and_b32_sdwa v25, v28, s0 dst_sel:DWORD dst_unused:UNUSED_PAD src0_sel:BYTE_3 src1_sel:DWORD
	v_and_b32_e32 v30, 0x7f800000, v28
	v_mov_b32_e32 v31, v19
	s_mov_b64 s[0:1], 0x7f800000
	v_and_b32_e32 v18, 0x7fffff, v28
	v_or_b32_e32 v21, 0x7e, v25
	v_cmp_ne_u64_e32 vcc, s[0:1], v[30:31]
	s_and_saveexec_b64 s[0:1], vcc
	s_xor_b64 s[8:9], exec, s[0:1]
	s_cbranch_execz .LBB7_103
; %bb.90:
	v_and_b32_e32 v30, 0x7fffffff, v28
	v_mov_b32_e32 v31, v19
	s_mov_b64 s[0:1], 0x43e00001
	v_cmp_gt_u64_e32 vcc, s[0:1], v[30:31]
	s_and_saveexec_b64 s[0:1], vcc
	s_xor_b64 s[14:15], exec, s[0:1]
	s_cbranch_execz .LBB7_102
; %bb.91:
	v_cmp_ne_u32_e32 vcc, 0, v28
	v_mov_b32_e32 v21, 0
	s_and_saveexec_b64 s[16:17], vcc
	s_cbranch_execz .LBB7_101
; %bb.92:
	v_bfe_u32 v21, v28, 23, 8
	s_movk_i32 s0, 0x7a
	v_sub_u32_e32 v29, 0x79, v21
	v_cmp_gt_u32_e32 vcc, s0, v21
	v_add_u32_e32 v28, 0xffffff81, v21
	v_cndmask_b32_e32 v29, 0, v29, vcc
	v_mov_b32_e32 v31, 0xffffff82
	v_cmp_eq_u32_e32 vcc, 0, v21
	v_cndmask_b32_e32 v21, v28, v31, vcc
	v_mov_b32_e32 v28, 0x78
	v_cndmask_b32_e32 v34, v29, v28, vcc
	v_add_u32_e32 v28, 20, v34
	v_or_b32_e32 v30, 0x800000, v18
	v_lshlrev_b64 v[28:29], v28, -1
	v_cndmask_b32_e32 v18, v30, v18, vcc
	v_not_b32_e32 v28, v28
	v_and_b32_e32 v30, v18, v28
	v_add_u32_e32 v28, 19, v34
	v_lshrrev_b64 v[18:19], v34, v[18:19]
	v_not_b32_e32 v29, v29
	v_lshlrev_b64 v[32:33], v28, 1
	v_lshrrev_b32_e32 v28, 23, v18
	v_and_b32_e32 v31, 0, v29
	v_add3_u32 v29, v34, v21, v28
	v_bfe_u32 v28, v18, 20, 1
	v_add_u32_e32 v28, -1, v28
	v_cmp_eq_u64_e32 vcc, v[30:31], v[32:33]
	v_cndmask_b32_e32 v28, 0, v28, vcc
	v_add_u32_e32 v28, v28, v18
	v_and_b32_e32 v28, 0xfffff, v28
	v_add_co_u32_e32 v18, vcc, v28, v18
	v_add_u32_e32 v21, 6, v29
	v_addc_co_u32_e32 v19, vcc, 0, v19, vcc
	v_cmp_ne_u32_e32 vcc, 0, v21
                                        ; implicit-def: $vgpr28
	s_and_saveexec_b64 s[0:1], vcc
	s_xor_b64 s[0:1], exec, s[0:1]
; %bb.93:
	s_mov_b64 s[18:19], 0xffffff
	v_add_u32_e32 v28, 7, v29
	v_cmp_lt_u64_e32 vcc, s[18:19], v[18:19]
	v_cndmask_b32_e32 v28, v21, v28, vcc
	v_cndmask_b32_e64 v21, 0, 1, vcc
	v_lshrrev_b64 v[18:19], v21, v[18:19]
; %bb.94:
	s_andn2_saveexec_b64 s[0:1], s[0:1]
; %bb.95:
	v_bfe_u32 v28, v18, 23, 1
; %bb.96:
	s_or_b64 exec, exec, s[0:1]
	v_lshrrev_b64 v[18:19], 20, v[18:19]
	v_cmp_gt_i32_e32 vcc, 16, v28
	v_cndmask_b32_e32 v19, 0, v19, vcc
	v_cndmask_b32_e32 v18, 7, v18, vcc
	v_cmp_ne_u32_e32 vcc, 0, v28
	v_cmp_ne_u64_e64 s[0:1], 0, v[18:19]
	s_or_b64 s[0:1], vcc, s[0:1]
                                        ; implicit-def: $vgpr21
	s_and_saveexec_b64 s[18:19], s[0:1]
	s_xor_b64 s[0:1], exec, s[18:19]
; %bb.97:
	v_min_i32_e32 v19, 15, v28
	v_lshl_or_b32 v19, v19, 3, v25
	v_and_or_b32 v21, v18, 7, v19
                                        ; implicit-def: $vgpr25
; %bb.98:
	s_andn2_saveexec_b64 s[0:1], s[0:1]
; %bb.99:
	v_mov_b32_e32 v21, v25
; %bb.100:
	s_or_b64 exec, exec, s[0:1]
.LBB7_101:
	s_or_b64 exec, exec, s[16:17]
.LBB7_102:
	s_andn2_saveexec_b64 s[0:1], s[14:15]
	s_or_b64 exec, exec, s[0:1]
                                        ; implicit-def: $vgpr28
                                        ; implicit-def: $vgpr18_vgpr19
.LBB7_103:
	s_andn2_saveexec_b64 s[0:1], s[8:9]
; %bb.104:
	s_movk_i32 s8, 0x7f
	v_or_b32_sdwa v25, v28, s8 dst_sel:DWORD dst_unused:UNUSED_PAD src0_sel:BYTE_3 src1_sel:DWORD
	v_cmp_eq_u64_e32 vcc, 0, v[18:19]
	v_cndmask_b32_e32 v21, v25, v21, vcc
; %bb.105:
	s_or_b64 exec, exec, s[0:1]
	v_mul_f32_e32 v1, v23, v1
	v_max_f32_e32 v1, 0xc3e00000, v1
	v_min_f32_e32 v28, 0x43e00000, v1
	v_mov_b32_e32 v19, 0
	s_movk_i32 s0, 0x80
	v_and_b32_sdwa v25, v28, s0 dst_sel:DWORD dst_unused:UNUSED_PAD src0_sel:BYTE_3 src1_sel:DWORD
	v_and_b32_e32 v30, 0x7f800000, v28
	v_mov_b32_e32 v31, v19
	s_mov_b64 s[0:1], 0x7f800000
	v_and_b32_e32 v18, 0x7fffff, v28
	v_or_b32_e32 v1, 0x7e, v25
	v_cmp_ne_u64_e32 vcc, s[0:1], v[30:31]
	s_and_saveexec_b64 s[0:1], vcc
	s_xor_b64 s[8:9], exec, s[0:1]
	s_cbranch_execz .LBB7_119
; %bb.106:
	v_and_b32_e32 v30, 0x7fffffff, v28
	v_mov_b32_e32 v31, v19
	s_mov_b64 s[0:1], 0x43e00001
	v_cmp_gt_u64_e32 vcc, s[0:1], v[30:31]
	s_and_saveexec_b64 s[0:1], vcc
	s_xor_b64 s[14:15], exec, s[0:1]
	s_cbranch_execz .LBB7_118
; %bb.107:
	v_cmp_ne_u32_e32 vcc, 0, v28
	v_mov_b32_e32 v1, 0
	s_and_saveexec_b64 s[16:17], vcc
	s_cbranch_execz .LBB7_117
; %bb.108:
	v_bfe_u32 v1, v28, 23, 8
	s_movk_i32 s0, 0x7a
	v_sub_u32_e32 v29, 0x79, v1
	v_cmp_gt_u32_e32 vcc, s0, v1
	v_add_u32_e32 v28, 0xffffff81, v1
	v_cndmask_b32_e32 v29, 0, v29, vcc
	v_mov_b32_e32 v31, 0xffffff82
	v_cmp_eq_u32_e32 vcc, 0, v1
	v_cndmask_b32_e32 v1, v28, v31, vcc
	v_mov_b32_e32 v28, 0x78
	v_cndmask_b32_e32 v34, v29, v28, vcc
	v_add_u32_e32 v28, 20, v34
	v_or_b32_e32 v30, 0x800000, v18
	v_lshlrev_b64 v[28:29], v28, -1
	v_cndmask_b32_e32 v18, v30, v18, vcc
	v_not_b32_e32 v28, v28
	v_and_b32_e32 v30, v18, v28
	v_add_u32_e32 v28, 19, v34
	v_lshrrev_b64 v[18:19], v34, v[18:19]
	v_not_b32_e32 v29, v29
	v_lshlrev_b64 v[32:33], v28, 1
	v_lshrrev_b32_e32 v28, 23, v18
	v_and_b32_e32 v31, 0, v29
	v_add3_u32 v29, v34, v1, v28
	v_bfe_u32 v28, v18, 20, 1
	v_add_u32_e32 v28, -1, v28
	v_cmp_eq_u64_e32 vcc, v[30:31], v[32:33]
	v_cndmask_b32_e32 v28, 0, v28, vcc
	v_add_u32_e32 v28, v28, v18
	v_and_b32_e32 v28, 0xfffff, v28
	v_add_co_u32_e32 v18, vcc, v28, v18
	v_add_u32_e32 v1, 6, v29
	v_addc_co_u32_e32 v19, vcc, 0, v19, vcc
	v_cmp_ne_u32_e32 vcc, 0, v1
                                        ; implicit-def: $vgpr28
	s_and_saveexec_b64 s[0:1], vcc
	s_xor_b64 s[0:1], exec, s[0:1]
; %bb.109:
	s_mov_b64 s[18:19], 0xffffff
	v_add_u32_e32 v28, 7, v29
	v_cmp_lt_u64_e32 vcc, s[18:19], v[18:19]
	v_cndmask_b32_e32 v28, v1, v28, vcc
	v_cndmask_b32_e64 v1, 0, 1, vcc
	v_lshrrev_b64 v[18:19], v1, v[18:19]
; %bb.110:
	s_andn2_saveexec_b64 s[0:1], s[0:1]
; %bb.111:
	v_bfe_u32 v28, v18, 23, 1
; %bb.112:
	s_or_b64 exec, exec, s[0:1]
	v_lshrrev_b64 v[18:19], 20, v[18:19]
	v_cmp_gt_i32_e32 vcc, 16, v28
	v_cndmask_b32_e32 v19, 0, v19, vcc
	v_cndmask_b32_e32 v18, 7, v18, vcc
	v_cmp_ne_u32_e32 vcc, 0, v28
	v_cmp_ne_u64_e64 s[0:1], 0, v[18:19]
	s_or_b64 s[0:1], vcc, s[0:1]
                                        ; implicit-def: $vgpr1
	s_and_saveexec_b64 s[18:19], s[0:1]
	s_xor_b64 s[0:1], exec, s[18:19]
; %bb.113:
	v_min_i32_e32 v1, 15, v28
	v_lshl_or_b32 v1, v1, 3, v25
	v_and_or_b32 v1, v18, 7, v1
                                        ; implicit-def: $vgpr25
; %bb.114:
	s_andn2_saveexec_b64 s[0:1], s[0:1]
; %bb.115:
	v_mov_b32_e32 v1, v25
; %bb.116:
	s_or_b64 exec, exec, s[0:1]
.LBB7_117:
	s_or_b64 exec, exec, s[16:17]
.LBB7_118:
	s_andn2_saveexec_b64 s[0:1], s[14:15]
	s_or_b64 exec, exec, s[0:1]
                                        ; implicit-def: $vgpr28
                                        ; implicit-def: $vgpr18_vgpr19
.LBB7_119:
	s_andn2_saveexec_b64 s[0:1], s[8:9]
; %bb.120:
	s_movk_i32 s8, 0x7f
	v_or_b32_sdwa v25, v28, s8 dst_sel:DWORD dst_unused:UNUSED_PAD src0_sel:BYTE_3 src1_sel:DWORD
	v_cmp_eq_u64_e32 vcc, 0, v[18:19]
	v_cndmask_b32_e32 v1, v25, v1, vcc
; %bb.121:
	s_or_b64 exec, exec, s[0:1]
	v_mul_f32_e32 v2, v23, v2
	v_max_f32_e32 v2, 0xc3e00000, v2
	v_min_f32_e32 v28, 0x43e00000, v2
	v_mov_b32_e32 v19, 0
	s_movk_i32 s0, 0x80
	v_and_b32_sdwa v2, v28, s0 dst_sel:DWORD dst_unused:UNUSED_PAD src0_sel:BYTE_3 src1_sel:DWORD
	v_and_b32_e32 v30, 0x7f800000, v28
	v_mov_b32_e32 v31, v19
	s_mov_b64 s[0:1], 0x7f800000
	v_and_b32_e32 v18, 0x7fffff, v28
	v_or_b32_e32 v25, 0x7e, v2
	v_cmp_ne_u64_e32 vcc, s[0:1], v[30:31]
	s_and_saveexec_b64 s[0:1], vcc
	s_xor_b64 s[8:9], exec, s[0:1]
	s_cbranch_execz .LBB7_135
; %bb.122:
	v_and_b32_e32 v30, 0x7fffffff, v28
	v_mov_b32_e32 v31, v19
	s_mov_b64 s[0:1], 0x43e00001
	v_cmp_gt_u64_e32 vcc, s[0:1], v[30:31]
	s_and_saveexec_b64 s[0:1], vcc
	s_xor_b64 s[14:15], exec, s[0:1]
	s_cbranch_execz .LBB7_134
; %bb.123:
	v_cmp_ne_u32_e32 vcc, 0, v28
	v_mov_b32_e32 v25, 0
	s_and_saveexec_b64 s[16:17], vcc
	s_cbranch_execz .LBB7_133
; %bb.124:
	v_bfe_u32 v25, v28, 23, 8
	s_movk_i32 s0, 0x7a
	v_sub_u32_e32 v29, 0x79, v25
	v_cmp_gt_u32_e32 vcc, s0, v25
	v_add_u32_e32 v28, 0xffffff81, v25
	v_cndmask_b32_e32 v29, 0, v29, vcc
	v_mov_b32_e32 v31, 0xffffff82
	v_cmp_eq_u32_e32 vcc, 0, v25
	v_cndmask_b32_e32 v25, v28, v31, vcc
	v_mov_b32_e32 v28, 0x78
	v_cndmask_b32_e32 v34, v29, v28, vcc
	v_add_u32_e32 v28, 20, v34
	v_or_b32_e32 v30, 0x800000, v18
	v_lshlrev_b64 v[28:29], v28, -1
	v_cndmask_b32_e32 v18, v30, v18, vcc
	v_not_b32_e32 v28, v28
	v_and_b32_e32 v30, v18, v28
	v_add_u32_e32 v28, 19, v34
	v_lshrrev_b64 v[18:19], v34, v[18:19]
	v_not_b32_e32 v29, v29
	v_lshlrev_b64 v[32:33], v28, 1
	v_lshrrev_b32_e32 v28, 23, v18
	v_and_b32_e32 v31, 0, v29
	v_add3_u32 v29, v34, v25, v28
	v_bfe_u32 v28, v18, 20, 1
	v_add_u32_e32 v28, -1, v28
	v_cmp_eq_u64_e32 vcc, v[30:31], v[32:33]
	v_cndmask_b32_e32 v28, 0, v28, vcc
	v_add_u32_e32 v28, v28, v18
	v_and_b32_e32 v28, 0xfffff, v28
	v_add_co_u32_e32 v18, vcc, v28, v18
	v_add_u32_e32 v25, 6, v29
	v_addc_co_u32_e32 v19, vcc, 0, v19, vcc
	v_cmp_ne_u32_e32 vcc, 0, v25
                                        ; implicit-def: $vgpr28
	s_and_saveexec_b64 s[0:1], vcc
	s_xor_b64 s[0:1], exec, s[0:1]
; %bb.125:
	s_mov_b64 s[18:19], 0xffffff
	v_add_u32_e32 v28, 7, v29
	v_cmp_lt_u64_e32 vcc, s[18:19], v[18:19]
	v_cndmask_b32_e32 v28, v25, v28, vcc
	v_cndmask_b32_e64 v25, 0, 1, vcc
	v_lshrrev_b64 v[18:19], v25, v[18:19]
; %bb.126:
	s_andn2_saveexec_b64 s[0:1], s[0:1]
; %bb.127:
	v_bfe_u32 v28, v18, 23, 1
; %bb.128:
	s_or_b64 exec, exec, s[0:1]
	v_lshrrev_b64 v[18:19], 20, v[18:19]
	v_cmp_gt_i32_e32 vcc, 16, v28
	v_cndmask_b32_e32 v19, 0, v19, vcc
	v_cndmask_b32_e32 v18, 7, v18, vcc
	v_cmp_ne_u32_e32 vcc, 0, v28
	v_cmp_ne_u64_e64 s[0:1], 0, v[18:19]
	s_or_b64 s[0:1], vcc, s[0:1]
                                        ; implicit-def: $vgpr25
	s_and_saveexec_b64 s[18:19], s[0:1]
	s_xor_b64 s[0:1], exec, s[18:19]
; %bb.129:
	v_min_i32_e32 v19, 15, v28
	v_lshl_or_b32 v2, v19, 3, v2
	v_and_or_b32 v25, v18, 7, v2
                                        ; implicit-def: $vgpr2
; %bb.130:
	s_andn2_saveexec_b64 s[0:1], s[0:1]
; %bb.131:
	v_mov_b32_e32 v25, v2
; %bb.132:
	s_or_b64 exec, exec, s[0:1]
.LBB7_133:
	s_or_b64 exec, exec, s[16:17]
.LBB7_134:
	s_andn2_saveexec_b64 s[0:1], s[14:15]
	s_or_b64 exec, exec, s[0:1]
                                        ; implicit-def: $vgpr28
                                        ; implicit-def: $vgpr18_vgpr19
.LBB7_135:
	s_andn2_saveexec_b64 s[0:1], s[8:9]
; %bb.136:
	s_movk_i32 s8, 0x7f
	v_or_b32_sdwa v2, v28, s8 dst_sel:DWORD dst_unused:UNUSED_PAD src0_sel:BYTE_3 src1_sel:DWORD
	v_cmp_eq_u64_e32 vcc, 0, v[18:19]
	v_cndmask_b32_e32 v25, v2, v25, vcc
; %bb.137:
	s_or_b64 exec, exec, s[0:1]
	v_mul_f32_e32 v2, v23, v3
	v_max_f32_e32 v2, 0xc3e00000, v2
	v_min_f32_e32 v28, 0x43e00000, v2
	v_mov_b32_e32 v3, 0
	s_movk_i32 s0, 0x80
	v_and_b32_sdwa v19, v28, s0 dst_sel:DWORD dst_unused:UNUSED_PAD src0_sel:BYTE_3 src1_sel:DWORD
	v_and_b32_e32 v30, 0x7f800000, v28
	v_mov_b32_e32 v31, v3
	s_mov_b64 s[0:1], 0x7f800000
	v_and_b32_e32 v2, 0x7fffff, v28
	v_or_b32_e32 v18, 0x7e, v19
	v_cmp_ne_u64_e32 vcc, s[0:1], v[30:31]
	s_and_saveexec_b64 s[0:1], vcc
	s_xor_b64 s[8:9], exec, s[0:1]
	s_cbranch_execz .LBB7_151
; %bb.138:
	v_and_b32_e32 v30, 0x7fffffff, v28
	v_mov_b32_e32 v31, v3
	s_mov_b64 s[0:1], 0x43e00001
	v_cmp_gt_u64_e32 vcc, s[0:1], v[30:31]
	s_and_saveexec_b64 s[0:1], vcc
	s_xor_b64 s[14:15], exec, s[0:1]
	s_cbranch_execz .LBB7_150
; %bb.139:
	v_cmp_ne_u32_e32 vcc, 0, v28
	v_mov_b32_e32 v18, 0
	s_and_saveexec_b64 s[16:17], vcc
	s_cbranch_execz .LBB7_149
; %bb.140:
	v_bfe_u32 v18, v28, 23, 8
	s_movk_i32 s0, 0x7a
	v_sub_u32_e32 v29, 0x79, v18
	v_cmp_gt_u32_e32 vcc, s0, v18
	v_add_u32_e32 v28, 0xffffff81, v18
	v_cndmask_b32_e32 v29, 0, v29, vcc
	v_mov_b32_e32 v31, 0xffffff82
	v_cmp_eq_u32_e32 vcc, 0, v18
	v_cndmask_b32_e32 v18, v28, v31, vcc
	v_mov_b32_e32 v28, 0x78
	v_cndmask_b32_e32 v34, v29, v28, vcc
	v_add_u32_e32 v28, 20, v34
	v_or_b32_e32 v30, 0x800000, v2
	v_lshlrev_b64 v[28:29], v28, -1
	v_cndmask_b32_e32 v2, v30, v2, vcc
	v_not_b32_e32 v28, v28
	v_and_b32_e32 v30, v2, v28
	v_add_u32_e32 v28, 19, v34
	v_lshrrev_b64 v[2:3], v34, v[2:3]
	v_not_b32_e32 v29, v29
	v_lshlrev_b64 v[32:33], v28, 1
	v_lshrrev_b32_e32 v28, 23, v2
	v_and_b32_e32 v31, 0, v29
	v_add3_u32 v29, v34, v18, v28
	v_bfe_u32 v28, v2, 20, 1
	v_add_u32_e32 v28, -1, v28
	v_cmp_eq_u64_e32 vcc, v[30:31], v[32:33]
	v_cndmask_b32_e32 v28, 0, v28, vcc
	v_add_u32_e32 v28, v28, v2
	v_and_b32_e32 v28, 0xfffff, v28
	v_add_co_u32_e32 v2, vcc, v28, v2
	v_add_u32_e32 v18, 6, v29
	v_addc_co_u32_e32 v3, vcc, 0, v3, vcc
	v_cmp_ne_u32_e32 vcc, 0, v18
                                        ; implicit-def: $vgpr28
	s_and_saveexec_b64 s[0:1], vcc
	s_xor_b64 s[0:1], exec, s[0:1]
; %bb.141:
	s_mov_b64 s[18:19], 0xffffff
	v_add_u32_e32 v28, 7, v29
	v_cmp_lt_u64_e32 vcc, s[18:19], v[2:3]
	v_cndmask_b32_e32 v28, v18, v28, vcc
	v_cndmask_b32_e64 v18, 0, 1, vcc
	v_lshrrev_b64 v[2:3], v18, v[2:3]
; %bb.142:
	s_andn2_saveexec_b64 s[0:1], s[0:1]
; %bb.143:
	v_bfe_u32 v28, v2, 23, 1
; %bb.144:
	s_or_b64 exec, exec, s[0:1]
	v_lshrrev_b64 v[2:3], 20, v[2:3]
	v_cmp_gt_i32_e32 vcc, 16, v28
	v_cndmask_b32_e32 v3, 0, v3, vcc
	v_cndmask_b32_e32 v2, 7, v2, vcc
	v_cmp_ne_u32_e32 vcc, 0, v28
	v_cmp_ne_u64_e64 s[0:1], 0, v[2:3]
	s_or_b64 s[0:1], vcc, s[0:1]
                                        ; implicit-def: $vgpr18
	s_and_saveexec_b64 s[18:19], s[0:1]
	s_xor_b64 s[0:1], exec, s[18:19]
; %bb.145:
	v_min_i32_e32 v3, 15, v28
	v_lshl_or_b32 v3, v3, 3, v19
	v_and_or_b32 v18, v2, 7, v3
                                        ; implicit-def: $vgpr19
; %bb.146:
	s_andn2_saveexec_b64 s[0:1], s[0:1]
; %bb.147:
	v_mov_b32_e32 v18, v19
; %bb.148:
	s_or_b64 exec, exec, s[0:1]
.LBB7_149:
	s_or_b64 exec, exec, s[16:17]
.LBB7_150:
	s_andn2_saveexec_b64 s[0:1], s[14:15]
	s_or_b64 exec, exec, s[0:1]
                                        ; implicit-def: $vgpr28
                                        ; implicit-def: $vgpr2_vgpr3
.LBB7_151:
	s_andn2_saveexec_b64 s[0:1], s[8:9]
; %bb.152:
	s_movk_i32 s8, 0x7f
	v_or_b32_sdwa v19, v28, s8 dst_sel:DWORD dst_unused:UNUSED_PAD src0_sel:BYTE_3 src1_sel:DWORD
	v_cmp_eq_u64_e32 vcc, 0, v[2:3]
	v_cndmask_b32_e32 v18, v19, v18, vcc
; %bb.153:
	s_or_b64 exec, exec, s[0:1]
	v_mul_f32_e32 v2, v23, v4
	v_max_f32_e32 v2, 0xc3e00000, v2
	v_min_f32_e32 v28, 0x43e00000, v2
	v_mov_b32_e32 v3, 0
	s_movk_i32 s0, 0x80
	v_and_b32_sdwa v19, v28, s0 dst_sel:DWORD dst_unused:UNUSED_PAD src0_sel:BYTE_3 src1_sel:DWORD
	v_and_b32_e32 v30, 0x7f800000, v28
	v_mov_b32_e32 v31, v3
	s_mov_b64 s[0:1], 0x7f800000
	v_and_b32_e32 v2, 0x7fffff, v28
	v_or_b32_e32 v4, 0x7e, v19
	v_cmp_ne_u64_e32 vcc, s[0:1], v[30:31]
	s_and_saveexec_b64 s[0:1], vcc
	s_xor_b64 s[8:9], exec, s[0:1]
	s_cbranch_execz .LBB7_167
; %bb.154:
	v_and_b32_e32 v30, 0x7fffffff, v28
	v_mov_b32_e32 v31, v3
	s_mov_b64 s[0:1], 0x43e00001
	v_cmp_gt_u64_e32 vcc, s[0:1], v[30:31]
	s_and_saveexec_b64 s[0:1], vcc
	s_xor_b64 s[14:15], exec, s[0:1]
	s_cbranch_execz .LBB7_166
; %bb.155:
	v_cmp_ne_u32_e32 vcc, 0, v28
	v_mov_b32_e32 v4, 0
	s_and_saveexec_b64 s[16:17], vcc
	s_cbranch_execz .LBB7_165
; %bb.156:
	v_bfe_u32 v4, v28, 23, 8
	s_movk_i32 s0, 0x7a
	v_sub_u32_e32 v29, 0x79, v4
	v_cmp_gt_u32_e32 vcc, s0, v4
	v_add_u32_e32 v28, 0xffffff81, v4
	v_cndmask_b32_e32 v29, 0, v29, vcc
	v_mov_b32_e32 v31, 0xffffff82
	v_cmp_eq_u32_e32 vcc, 0, v4
	v_cndmask_b32_e32 v4, v28, v31, vcc
	v_mov_b32_e32 v28, 0x78
	v_cndmask_b32_e32 v34, v29, v28, vcc
	v_add_u32_e32 v28, 20, v34
	v_or_b32_e32 v30, 0x800000, v2
	v_lshlrev_b64 v[28:29], v28, -1
	v_cndmask_b32_e32 v2, v30, v2, vcc
	v_not_b32_e32 v28, v28
	v_and_b32_e32 v30, v2, v28
	v_add_u32_e32 v28, 19, v34
	v_lshrrev_b64 v[2:3], v34, v[2:3]
	v_not_b32_e32 v29, v29
	v_lshlrev_b64 v[32:33], v28, 1
	v_lshrrev_b32_e32 v28, 23, v2
	v_and_b32_e32 v31, 0, v29
	v_add3_u32 v29, v34, v4, v28
	v_bfe_u32 v28, v2, 20, 1
	v_add_u32_e32 v28, -1, v28
	v_cmp_eq_u64_e32 vcc, v[30:31], v[32:33]
	v_cndmask_b32_e32 v28, 0, v28, vcc
	v_add_u32_e32 v28, v28, v2
	v_and_b32_e32 v28, 0xfffff, v28
	v_add_co_u32_e32 v2, vcc, v28, v2
	v_add_u32_e32 v4, 6, v29
	v_addc_co_u32_e32 v3, vcc, 0, v3, vcc
	v_cmp_ne_u32_e32 vcc, 0, v4
                                        ; implicit-def: $vgpr28
	s_and_saveexec_b64 s[0:1], vcc
	s_xor_b64 s[0:1], exec, s[0:1]
; %bb.157:
	s_mov_b64 s[18:19], 0xffffff
	v_add_u32_e32 v28, 7, v29
	v_cmp_lt_u64_e32 vcc, s[18:19], v[2:3]
	v_cndmask_b32_e32 v28, v4, v28, vcc
	v_cndmask_b32_e64 v4, 0, 1, vcc
	v_lshrrev_b64 v[2:3], v4, v[2:3]
; %bb.158:
	s_andn2_saveexec_b64 s[0:1], s[0:1]
; %bb.159:
	v_bfe_u32 v28, v2, 23, 1
; %bb.160:
	s_or_b64 exec, exec, s[0:1]
	v_lshrrev_b64 v[2:3], 20, v[2:3]
	v_cmp_gt_i32_e32 vcc, 16, v28
	v_cndmask_b32_e32 v3, 0, v3, vcc
	v_cndmask_b32_e32 v2, 7, v2, vcc
	v_cmp_ne_u32_e32 vcc, 0, v28
	v_cmp_ne_u64_e64 s[0:1], 0, v[2:3]
	s_or_b64 s[0:1], vcc, s[0:1]
                                        ; implicit-def: $vgpr4
	s_and_saveexec_b64 s[18:19], s[0:1]
	s_xor_b64 s[0:1], exec, s[18:19]
; %bb.161:
	v_min_i32_e32 v3, 15, v28
	v_lshl_or_b32 v3, v3, 3, v19
	v_and_or_b32 v4, v2, 7, v3
                                        ; implicit-def: $vgpr19
; %bb.162:
	s_andn2_saveexec_b64 s[0:1], s[0:1]
; %bb.163:
	v_mov_b32_e32 v4, v19
; %bb.164:
	s_or_b64 exec, exec, s[0:1]
.LBB7_165:
	s_or_b64 exec, exec, s[16:17]
.LBB7_166:
	s_andn2_saveexec_b64 s[0:1], s[14:15]
	s_or_b64 exec, exec, s[0:1]
                                        ; implicit-def: $vgpr28
                                        ; implicit-def: $vgpr2_vgpr3
.LBB7_167:
	s_andn2_saveexec_b64 s[0:1], s[8:9]
; %bb.168:
	s_movk_i32 s8, 0x7f
	v_or_b32_sdwa v19, v28, s8 dst_sel:DWORD dst_unused:UNUSED_PAD src0_sel:BYTE_3 src1_sel:DWORD
	v_cmp_eq_u64_e32 vcc, 0, v[2:3]
	v_cndmask_b32_e32 v4, v19, v4, vcc
; %bb.169:
	s_or_b64 exec, exec, s[0:1]
	v_mul_f32_e32 v2, v23, v5
	v_max_f32_e32 v2, 0xc3e00000, v2
	v_min_f32_e32 v28, 0x43e00000, v2
	v_mov_b32_e32 v3, 0
	s_movk_i32 s0, 0x80
	v_and_b32_sdwa v19, v28, s0 dst_sel:DWORD dst_unused:UNUSED_PAD src0_sel:BYTE_3 src1_sel:DWORD
	v_and_b32_e32 v30, 0x7f800000, v28
	v_mov_b32_e32 v31, v3
	s_mov_b64 s[0:1], 0x7f800000
	v_and_b32_e32 v2, 0x7fffff, v28
	v_or_b32_e32 v5, 0x7e, v19
	v_cmp_ne_u64_e32 vcc, s[0:1], v[30:31]
	s_and_saveexec_b64 s[0:1], vcc
	s_xor_b64 s[8:9], exec, s[0:1]
	s_cbranch_execz .LBB7_183
; %bb.170:
	v_and_b32_e32 v30, 0x7fffffff, v28
	v_mov_b32_e32 v31, v3
	s_mov_b64 s[0:1], 0x43e00001
	v_cmp_gt_u64_e32 vcc, s[0:1], v[30:31]
	s_and_saveexec_b64 s[0:1], vcc
	s_xor_b64 s[14:15], exec, s[0:1]
	s_cbranch_execz .LBB7_182
; %bb.171:
	v_cmp_ne_u32_e32 vcc, 0, v28
	v_mov_b32_e32 v5, 0
	s_and_saveexec_b64 s[16:17], vcc
	s_cbranch_execz .LBB7_181
; %bb.172:
	v_bfe_u32 v5, v28, 23, 8
	s_movk_i32 s0, 0x7a
	v_sub_u32_e32 v29, 0x79, v5
	v_cmp_gt_u32_e32 vcc, s0, v5
	v_add_u32_e32 v28, 0xffffff81, v5
	v_cndmask_b32_e32 v29, 0, v29, vcc
	v_mov_b32_e32 v31, 0xffffff82
	v_cmp_eq_u32_e32 vcc, 0, v5
	v_cndmask_b32_e32 v5, v28, v31, vcc
	v_mov_b32_e32 v28, 0x78
	v_cndmask_b32_e32 v34, v29, v28, vcc
	v_add_u32_e32 v28, 20, v34
	v_or_b32_e32 v30, 0x800000, v2
	v_lshlrev_b64 v[28:29], v28, -1
	v_cndmask_b32_e32 v2, v30, v2, vcc
	v_not_b32_e32 v28, v28
	v_and_b32_e32 v30, v2, v28
	v_add_u32_e32 v28, 19, v34
	v_lshrrev_b64 v[2:3], v34, v[2:3]
	v_not_b32_e32 v29, v29
	v_lshlrev_b64 v[32:33], v28, 1
	v_lshrrev_b32_e32 v28, 23, v2
	v_and_b32_e32 v31, 0, v29
	v_add3_u32 v29, v34, v5, v28
	v_bfe_u32 v28, v2, 20, 1
	v_add_u32_e32 v28, -1, v28
	v_cmp_eq_u64_e32 vcc, v[30:31], v[32:33]
	v_cndmask_b32_e32 v28, 0, v28, vcc
	v_add_u32_e32 v28, v28, v2
	v_and_b32_e32 v28, 0xfffff, v28
	v_add_co_u32_e32 v2, vcc, v28, v2
	v_add_u32_e32 v5, 6, v29
	v_addc_co_u32_e32 v3, vcc, 0, v3, vcc
	v_cmp_ne_u32_e32 vcc, 0, v5
                                        ; implicit-def: $vgpr28
	s_and_saveexec_b64 s[0:1], vcc
	s_xor_b64 s[0:1], exec, s[0:1]
; %bb.173:
	s_mov_b64 s[18:19], 0xffffff
	v_add_u32_e32 v28, 7, v29
	v_cmp_lt_u64_e32 vcc, s[18:19], v[2:3]
	v_cndmask_b32_e32 v28, v5, v28, vcc
	v_cndmask_b32_e64 v5, 0, 1, vcc
	v_lshrrev_b64 v[2:3], v5, v[2:3]
; %bb.174:
	s_andn2_saveexec_b64 s[0:1], s[0:1]
; %bb.175:
	v_bfe_u32 v28, v2, 23, 1
; %bb.176:
	s_or_b64 exec, exec, s[0:1]
	v_lshrrev_b64 v[2:3], 20, v[2:3]
	v_cmp_gt_i32_e32 vcc, 16, v28
	v_cndmask_b32_e32 v3, 0, v3, vcc
	v_cndmask_b32_e32 v2, 7, v2, vcc
	v_cmp_ne_u32_e32 vcc, 0, v28
	v_cmp_ne_u64_e64 s[0:1], 0, v[2:3]
	s_or_b64 s[0:1], vcc, s[0:1]
                                        ; implicit-def: $vgpr5
	s_and_saveexec_b64 s[18:19], s[0:1]
	s_xor_b64 s[0:1], exec, s[18:19]
; %bb.177:
	v_min_i32_e32 v3, 15, v28
	v_lshl_or_b32 v3, v3, 3, v19
	v_and_or_b32 v5, v2, 7, v3
                                        ; implicit-def: $vgpr19
; %bb.178:
	s_andn2_saveexec_b64 s[0:1], s[0:1]
; %bb.179:
	v_mov_b32_e32 v5, v19
; %bb.180:
	s_or_b64 exec, exec, s[0:1]
.LBB7_181:
	s_or_b64 exec, exec, s[16:17]
.LBB7_182:
	s_andn2_saveexec_b64 s[0:1], s[14:15]
	s_or_b64 exec, exec, s[0:1]
                                        ; implicit-def: $vgpr28
                                        ; implicit-def: $vgpr2_vgpr3
.LBB7_183:
	s_andn2_saveexec_b64 s[0:1], s[8:9]
; %bb.184:
	s_movk_i32 s8, 0x7f
	v_or_b32_sdwa v19, v28, s8 dst_sel:DWORD dst_unused:UNUSED_PAD src0_sel:BYTE_3 src1_sel:DWORD
	v_cmp_eq_u64_e32 vcc, 0, v[2:3]
	v_cndmask_b32_e32 v5, v19, v5, vcc
; %bb.185:
	s_or_b64 exec, exec, s[0:1]
	v_mul_f32_e32 v2, v23, v6
	v_max_f32_e32 v2, 0xc3e00000, v2
	v_min_f32_e32 v28, 0x43e00000, v2
	v_mov_b32_e32 v3, 0
	s_movk_i32 s0, 0x80
	v_and_b32_sdwa v19, v28, s0 dst_sel:DWORD dst_unused:UNUSED_PAD src0_sel:BYTE_3 src1_sel:DWORD
	v_and_b32_e32 v30, 0x7f800000, v28
	v_mov_b32_e32 v31, v3
	s_mov_b64 s[0:1], 0x7f800000
	v_and_b32_e32 v2, 0x7fffff, v28
	v_or_b32_e32 v6, 0x7e, v19
	v_cmp_ne_u64_e32 vcc, s[0:1], v[30:31]
	s_and_saveexec_b64 s[0:1], vcc
	s_xor_b64 s[8:9], exec, s[0:1]
	s_cbranch_execz .LBB7_199
; %bb.186:
	v_and_b32_e32 v30, 0x7fffffff, v28
	v_mov_b32_e32 v31, v3
	s_mov_b64 s[0:1], 0x43e00001
	v_cmp_gt_u64_e32 vcc, s[0:1], v[30:31]
	s_and_saveexec_b64 s[0:1], vcc
	s_xor_b64 s[14:15], exec, s[0:1]
	s_cbranch_execz .LBB7_198
; %bb.187:
	v_cmp_ne_u32_e32 vcc, 0, v28
	v_mov_b32_e32 v6, 0
	s_and_saveexec_b64 s[16:17], vcc
	s_cbranch_execz .LBB7_197
; %bb.188:
	v_bfe_u32 v6, v28, 23, 8
	s_movk_i32 s0, 0x7a
	v_sub_u32_e32 v29, 0x79, v6
	v_cmp_gt_u32_e32 vcc, s0, v6
	v_add_u32_e32 v28, 0xffffff81, v6
	v_cndmask_b32_e32 v29, 0, v29, vcc
	v_mov_b32_e32 v31, 0xffffff82
	v_cmp_eq_u32_e32 vcc, 0, v6
	v_cndmask_b32_e32 v6, v28, v31, vcc
	v_mov_b32_e32 v28, 0x78
	v_cndmask_b32_e32 v34, v29, v28, vcc
	v_add_u32_e32 v28, 20, v34
	v_or_b32_e32 v30, 0x800000, v2
	v_lshlrev_b64 v[28:29], v28, -1
	v_cndmask_b32_e32 v2, v30, v2, vcc
	v_not_b32_e32 v28, v28
	v_and_b32_e32 v30, v2, v28
	v_add_u32_e32 v28, 19, v34
	v_lshrrev_b64 v[2:3], v34, v[2:3]
	v_not_b32_e32 v29, v29
	v_lshlrev_b64 v[32:33], v28, 1
	v_lshrrev_b32_e32 v28, 23, v2
	v_and_b32_e32 v31, 0, v29
	v_add3_u32 v29, v34, v6, v28
	v_bfe_u32 v28, v2, 20, 1
	v_add_u32_e32 v28, -1, v28
	v_cmp_eq_u64_e32 vcc, v[30:31], v[32:33]
	v_cndmask_b32_e32 v28, 0, v28, vcc
	v_add_u32_e32 v28, v28, v2
	v_and_b32_e32 v28, 0xfffff, v28
	v_add_co_u32_e32 v2, vcc, v28, v2
	v_add_u32_e32 v6, 6, v29
	v_addc_co_u32_e32 v3, vcc, 0, v3, vcc
	v_cmp_ne_u32_e32 vcc, 0, v6
                                        ; implicit-def: $vgpr28
	s_and_saveexec_b64 s[0:1], vcc
	s_xor_b64 s[0:1], exec, s[0:1]
; %bb.189:
	s_mov_b64 s[18:19], 0xffffff
	v_add_u32_e32 v28, 7, v29
	v_cmp_lt_u64_e32 vcc, s[18:19], v[2:3]
	v_cndmask_b32_e32 v28, v6, v28, vcc
	v_cndmask_b32_e64 v6, 0, 1, vcc
	v_lshrrev_b64 v[2:3], v6, v[2:3]
; %bb.190:
	s_andn2_saveexec_b64 s[0:1], s[0:1]
; %bb.191:
	v_bfe_u32 v28, v2, 23, 1
; %bb.192:
	s_or_b64 exec, exec, s[0:1]
	v_lshrrev_b64 v[2:3], 20, v[2:3]
	v_cmp_gt_i32_e32 vcc, 16, v28
	v_cndmask_b32_e32 v3, 0, v3, vcc
	v_cndmask_b32_e32 v2, 7, v2, vcc
	v_cmp_ne_u32_e32 vcc, 0, v28
	v_cmp_ne_u64_e64 s[0:1], 0, v[2:3]
	s_or_b64 s[0:1], vcc, s[0:1]
                                        ; implicit-def: $vgpr6
	s_and_saveexec_b64 s[18:19], s[0:1]
	s_xor_b64 s[0:1], exec, s[18:19]
; %bb.193:
	v_min_i32_e32 v3, 15, v28
	v_lshl_or_b32 v3, v3, 3, v19
	v_and_or_b32 v6, v2, 7, v3
                                        ; implicit-def: $vgpr19
; %bb.194:
	s_andn2_saveexec_b64 s[0:1], s[0:1]
; %bb.195:
	v_mov_b32_e32 v6, v19
; %bb.196:
	s_or_b64 exec, exec, s[0:1]
.LBB7_197:
	s_or_b64 exec, exec, s[16:17]
.LBB7_198:
	s_andn2_saveexec_b64 s[0:1], s[14:15]
	s_or_b64 exec, exec, s[0:1]
                                        ; implicit-def: $vgpr28
                                        ; implicit-def: $vgpr2_vgpr3
.LBB7_199:
	s_andn2_saveexec_b64 s[0:1], s[8:9]
; %bb.200:
	s_movk_i32 s8, 0x7f
	v_or_b32_sdwa v19, v28, s8 dst_sel:DWORD dst_unused:UNUSED_PAD src0_sel:BYTE_3 src1_sel:DWORD
	v_cmp_eq_u64_e32 vcc, 0, v[2:3]
	v_cndmask_b32_e32 v6, v19, v6, vcc
; %bb.201:
	s_or_b64 exec, exec, s[0:1]
	v_mul_f32_e32 v2, v23, v7
	v_max_f32_e32 v2, 0xc3e00000, v2
	v_min_f32_e32 v28, 0x43e00000, v2
	v_mov_b32_e32 v3, 0
	s_movk_i32 s0, 0x80
	v_and_b32_sdwa v19, v28, s0 dst_sel:DWORD dst_unused:UNUSED_PAD src0_sel:BYTE_3 src1_sel:DWORD
	v_and_b32_e32 v30, 0x7f800000, v28
	v_mov_b32_e32 v31, v3
	s_mov_b64 s[0:1], 0x7f800000
	v_and_b32_e32 v2, 0x7fffff, v28
	v_or_b32_e32 v7, 0x7e, v19
	v_cmp_ne_u64_e32 vcc, s[0:1], v[30:31]
	s_and_saveexec_b64 s[0:1], vcc
	s_xor_b64 s[8:9], exec, s[0:1]
	s_cbranch_execz .LBB7_215
; %bb.202:
	v_and_b32_e32 v30, 0x7fffffff, v28
	v_mov_b32_e32 v31, v3
	s_mov_b64 s[0:1], 0x43e00001
	v_cmp_gt_u64_e32 vcc, s[0:1], v[30:31]
	s_and_saveexec_b64 s[0:1], vcc
	s_xor_b64 s[14:15], exec, s[0:1]
	s_cbranch_execz .LBB7_214
; %bb.203:
	v_cmp_ne_u32_e32 vcc, 0, v28
	v_mov_b32_e32 v7, 0
	s_and_saveexec_b64 s[16:17], vcc
	s_cbranch_execz .LBB7_213
; %bb.204:
	v_bfe_u32 v7, v28, 23, 8
	s_movk_i32 s0, 0x7a
	v_sub_u32_e32 v29, 0x79, v7
	v_cmp_gt_u32_e32 vcc, s0, v7
	v_add_u32_e32 v28, 0xffffff81, v7
	v_cndmask_b32_e32 v29, 0, v29, vcc
	v_mov_b32_e32 v31, 0xffffff82
	v_cmp_eq_u32_e32 vcc, 0, v7
	v_cndmask_b32_e32 v7, v28, v31, vcc
	v_mov_b32_e32 v28, 0x78
	v_cndmask_b32_e32 v34, v29, v28, vcc
	v_add_u32_e32 v28, 20, v34
	v_or_b32_e32 v30, 0x800000, v2
	v_lshlrev_b64 v[28:29], v28, -1
	v_cndmask_b32_e32 v2, v30, v2, vcc
	v_not_b32_e32 v28, v28
	v_and_b32_e32 v30, v2, v28
	v_add_u32_e32 v28, 19, v34
	v_lshrrev_b64 v[2:3], v34, v[2:3]
	v_not_b32_e32 v29, v29
	v_lshlrev_b64 v[32:33], v28, 1
	v_lshrrev_b32_e32 v28, 23, v2
	v_and_b32_e32 v31, 0, v29
	v_add3_u32 v29, v34, v7, v28
	v_bfe_u32 v28, v2, 20, 1
	v_add_u32_e32 v28, -1, v28
	v_cmp_eq_u64_e32 vcc, v[30:31], v[32:33]
	v_cndmask_b32_e32 v28, 0, v28, vcc
	v_add_u32_e32 v28, v28, v2
	v_and_b32_e32 v28, 0xfffff, v28
	v_add_co_u32_e32 v2, vcc, v28, v2
	v_add_u32_e32 v7, 6, v29
	v_addc_co_u32_e32 v3, vcc, 0, v3, vcc
	v_cmp_ne_u32_e32 vcc, 0, v7
                                        ; implicit-def: $vgpr28
	s_and_saveexec_b64 s[0:1], vcc
	s_xor_b64 s[0:1], exec, s[0:1]
; %bb.205:
	s_mov_b64 s[18:19], 0xffffff
	v_add_u32_e32 v28, 7, v29
	v_cmp_lt_u64_e32 vcc, s[18:19], v[2:3]
	v_cndmask_b32_e32 v28, v7, v28, vcc
	v_cndmask_b32_e64 v7, 0, 1, vcc
	v_lshrrev_b64 v[2:3], v7, v[2:3]
; %bb.206:
	s_andn2_saveexec_b64 s[0:1], s[0:1]
; %bb.207:
	v_bfe_u32 v28, v2, 23, 1
; %bb.208:
	s_or_b64 exec, exec, s[0:1]
	v_lshrrev_b64 v[2:3], 20, v[2:3]
	v_cmp_gt_i32_e32 vcc, 16, v28
	v_cndmask_b32_e32 v3, 0, v3, vcc
	v_cndmask_b32_e32 v2, 7, v2, vcc
	v_cmp_ne_u32_e32 vcc, 0, v28
	v_cmp_ne_u64_e64 s[0:1], 0, v[2:3]
	s_or_b64 s[0:1], vcc, s[0:1]
                                        ; implicit-def: $vgpr7
	s_and_saveexec_b64 s[18:19], s[0:1]
	s_xor_b64 s[0:1], exec, s[18:19]
; %bb.209:
	v_min_i32_e32 v3, 15, v28
	v_lshl_or_b32 v3, v3, 3, v19
	v_and_or_b32 v7, v2, 7, v3
                                        ; implicit-def: $vgpr19
; %bb.210:
	s_andn2_saveexec_b64 s[0:1], s[0:1]
; %bb.211:
	v_mov_b32_e32 v7, v19
; %bb.212:
	s_or_b64 exec, exec, s[0:1]
.LBB7_213:
	s_or_b64 exec, exec, s[16:17]
.LBB7_214:
	s_andn2_saveexec_b64 s[0:1], s[14:15]
	s_or_b64 exec, exec, s[0:1]
                                        ; implicit-def: $vgpr28
                                        ; implicit-def: $vgpr2_vgpr3
.LBB7_215:
	s_andn2_saveexec_b64 s[0:1], s[8:9]
; %bb.216:
	s_movk_i32 s8, 0x7f
	v_or_b32_sdwa v19, v28, s8 dst_sel:DWORD dst_unused:UNUSED_PAD src0_sel:BYTE_3 src1_sel:DWORD
	v_cmp_eq_u64_e32 vcc, 0, v[2:3]
	v_cndmask_b32_e32 v7, v19, v7, vcc
; %bb.217:
	s_or_b64 exec, exec, s[0:1]
	v_mul_f32_e32 v2, v23, v8
	v_max_f32_e32 v2, 0xc3e00000, v2
	v_min_f32_e32 v28, 0x43e00000, v2
	v_mov_b32_e32 v3, 0
	s_movk_i32 s0, 0x80
	v_and_b32_sdwa v19, v28, s0 dst_sel:DWORD dst_unused:UNUSED_PAD src0_sel:BYTE_3 src1_sel:DWORD
	v_and_b32_e32 v30, 0x7f800000, v28
	v_mov_b32_e32 v31, v3
	s_mov_b64 s[0:1], 0x7f800000
	v_and_b32_e32 v2, 0x7fffff, v28
	v_or_b32_e32 v8, 0x7e, v19
	v_cmp_ne_u64_e32 vcc, s[0:1], v[30:31]
	s_and_saveexec_b64 s[0:1], vcc
	s_xor_b64 s[8:9], exec, s[0:1]
	s_cbranch_execz .LBB7_231
; %bb.218:
	v_and_b32_e32 v30, 0x7fffffff, v28
	v_mov_b32_e32 v31, v3
	s_mov_b64 s[0:1], 0x43e00001
	v_cmp_gt_u64_e32 vcc, s[0:1], v[30:31]
	s_and_saveexec_b64 s[0:1], vcc
	s_xor_b64 s[14:15], exec, s[0:1]
	s_cbranch_execz .LBB7_230
; %bb.219:
	v_cmp_ne_u32_e32 vcc, 0, v28
	v_mov_b32_e32 v8, 0
	s_and_saveexec_b64 s[16:17], vcc
	s_cbranch_execz .LBB7_229
; %bb.220:
	v_bfe_u32 v8, v28, 23, 8
	s_movk_i32 s0, 0x7a
	v_sub_u32_e32 v29, 0x79, v8
	v_cmp_gt_u32_e32 vcc, s0, v8
	v_add_u32_e32 v28, 0xffffff81, v8
	v_cndmask_b32_e32 v29, 0, v29, vcc
	v_mov_b32_e32 v31, 0xffffff82
	v_cmp_eq_u32_e32 vcc, 0, v8
	v_cndmask_b32_e32 v8, v28, v31, vcc
	v_mov_b32_e32 v28, 0x78
	v_cndmask_b32_e32 v34, v29, v28, vcc
	v_add_u32_e32 v28, 20, v34
	v_or_b32_e32 v30, 0x800000, v2
	v_lshlrev_b64 v[28:29], v28, -1
	v_cndmask_b32_e32 v2, v30, v2, vcc
	v_not_b32_e32 v28, v28
	v_and_b32_e32 v30, v2, v28
	v_add_u32_e32 v28, 19, v34
	v_lshrrev_b64 v[2:3], v34, v[2:3]
	v_not_b32_e32 v29, v29
	v_lshlrev_b64 v[32:33], v28, 1
	v_lshrrev_b32_e32 v28, 23, v2
	v_and_b32_e32 v31, 0, v29
	v_add3_u32 v29, v34, v8, v28
	v_bfe_u32 v28, v2, 20, 1
	v_add_u32_e32 v28, -1, v28
	v_cmp_eq_u64_e32 vcc, v[30:31], v[32:33]
	v_cndmask_b32_e32 v28, 0, v28, vcc
	v_add_u32_e32 v28, v28, v2
	v_and_b32_e32 v28, 0xfffff, v28
	v_add_co_u32_e32 v2, vcc, v28, v2
	v_add_u32_e32 v8, 6, v29
	v_addc_co_u32_e32 v3, vcc, 0, v3, vcc
	v_cmp_ne_u32_e32 vcc, 0, v8
                                        ; implicit-def: $vgpr28
	s_and_saveexec_b64 s[0:1], vcc
	s_xor_b64 s[0:1], exec, s[0:1]
; %bb.221:
	s_mov_b64 s[18:19], 0xffffff
	v_add_u32_e32 v28, 7, v29
	v_cmp_lt_u64_e32 vcc, s[18:19], v[2:3]
	v_cndmask_b32_e32 v28, v8, v28, vcc
	v_cndmask_b32_e64 v8, 0, 1, vcc
	v_lshrrev_b64 v[2:3], v8, v[2:3]
; %bb.222:
	s_andn2_saveexec_b64 s[0:1], s[0:1]
; %bb.223:
	v_bfe_u32 v28, v2, 23, 1
; %bb.224:
	s_or_b64 exec, exec, s[0:1]
	v_lshrrev_b64 v[2:3], 20, v[2:3]
	v_cmp_gt_i32_e32 vcc, 16, v28
	v_cndmask_b32_e32 v3, 0, v3, vcc
	v_cndmask_b32_e32 v2, 7, v2, vcc
	v_cmp_ne_u32_e32 vcc, 0, v28
	v_cmp_ne_u64_e64 s[0:1], 0, v[2:3]
	s_or_b64 s[0:1], vcc, s[0:1]
                                        ; implicit-def: $vgpr8
	s_and_saveexec_b64 s[18:19], s[0:1]
	s_xor_b64 s[0:1], exec, s[18:19]
; %bb.225:
	v_min_i32_e32 v3, 15, v28
	v_lshl_or_b32 v3, v3, 3, v19
	v_and_or_b32 v8, v2, 7, v3
                                        ; implicit-def: $vgpr19
; %bb.226:
	s_andn2_saveexec_b64 s[0:1], s[0:1]
; %bb.227:
	v_mov_b32_e32 v8, v19
; %bb.228:
	s_or_b64 exec, exec, s[0:1]
.LBB7_229:
	s_or_b64 exec, exec, s[16:17]
.LBB7_230:
	s_andn2_saveexec_b64 s[0:1], s[14:15]
	s_or_b64 exec, exec, s[0:1]
                                        ; implicit-def: $vgpr28
                                        ; implicit-def: $vgpr2_vgpr3
.LBB7_231:
	s_andn2_saveexec_b64 s[0:1], s[8:9]
; %bb.232:
	s_movk_i32 s8, 0x7f
	v_or_b32_sdwa v19, v28, s8 dst_sel:DWORD dst_unused:UNUSED_PAD src0_sel:BYTE_3 src1_sel:DWORD
	v_cmp_eq_u64_e32 vcc, 0, v[2:3]
	v_cndmask_b32_e32 v8, v19, v8, vcc
; %bb.233:
	s_or_b64 exec, exec, s[0:1]
	v_mul_f32_e32 v2, v23, v9
	v_max_f32_e32 v2, 0xc3e00000, v2
	v_min_f32_e32 v28, 0x43e00000, v2
	v_mov_b32_e32 v3, 0
	s_movk_i32 s0, 0x80
	v_and_b32_sdwa v19, v28, s0 dst_sel:DWORD dst_unused:UNUSED_PAD src0_sel:BYTE_3 src1_sel:DWORD
	v_and_b32_e32 v30, 0x7f800000, v28
	v_mov_b32_e32 v31, v3
	s_mov_b64 s[0:1], 0x7f800000
	v_and_b32_e32 v2, 0x7fffff, v28
	v_or_b32_e32 v9, 0x7e, v19
	v_cmp_ne_u64_e32 vcc, s[0:1], v[30:31]
	s_and_saveexec_b64 s[0:1], vcc
	s_xor_b64 s[8:9], exec, s[0:1]
	s_cbranch_execz .LBB7_247
; %bb.234:
	v_and_b32_e32 v30, 0x7fffffff, v28
	v_mov_b32_e32 v31, v3
	s_mov_b64 s[0:1], 0x43e00001
	v_cmp_gt_u64_e32 vcc, s[0:1], v[30:31]
	s_and_saveexec_b64 s[0:1], vcc
	s_xor_b64 s[14:15], exec, s[0:1]
	s_cbranch_execz .LBB7_246
; %bb.235:
	v_cmp_ne_u32_e32 vcc, 0, v28
	v_mov_b32_e32 v9, 0
	s_and_saveexec_b64 s[16:17], vcc
	s_cbranch_execz .LBB7_245
; %bb.236:
	v_bfe_u32 v9, v28, 23, 8
	s_movk_i32 s0, 0x7a
	v_sub_u32_e32 v29, 0x79, v9
	v_cmp_gt_u32_e32 vcc, s0, v9
	v_add_u32_e32 v28, 0xffffff81, v9
	v_cndmask_b32_e32 v29, 0, v29, vcc
	v_mov_b32_e32 v31, 0xffffff82
	v_cmp_eq_u32_e32 vcc, 0, v9
	v_cndmask_b32_e32 v9, v28, v31, vcc
	v_mov_b32_e32 v28, 0x78
	v_cndmask_b32_e32 v34, v29, v28, vcc
	v_add_u32_e32 v28, 20, v34
	v_or_b32_e32 v30, 0x800000, v2
	v_lshlrev_b64 v[28:29], v28, -1
	v_cndmask_b32_e32 v2, v30, v2, vcc
	v_not_b32_e32 v28, v28
	v_and_b32_e32 v30, v2, v28
	v_add_u32_e32 v28, 19, v34
	v_lshrrev_b64 v[2:3], v34, v[2:3]
	v_not_b32_e32 v29, v29
	v_lshlrev_b64 v[32:33], v28, 1
	v_lshrrev_b32_e32 v28, 23, v2
	v_and_b32_e32 v31, 0, v29
	v_add3_u32 v29, v34, v9, v28
	v_bfe_u32 v28, v2, 20, 1
	v_add_u32_e32 v28, -1, v28
	v_cmp_eq_u64_e32 vcc, v[30:31], v[32:33]
	v_cndmask_b32_e32 v28, 0, v28, vcc
	v_add_u32_e32 v28, v28, v2
	v_and_b32_e32 v28, 0xfffff, v28
	v_add_co_u32_e32 v2, vcc, v28, v2
	v_add_u32_e32 v9, 6, v29
	v_addc_co_u32_e32 v3, vcc, 0, v3, vcc
	v_cmp_ne_u32_e32 vcc, 0, v9
                                        ; implicit-def: $vgpr28
	s_and_saveexec_b64 s[0:1], vcc
	s_xor_b64 s[0:1], exec, s[0:1]
; %bb.237:
	s_mov_b64 s[18:19], 0xffffff
	v_add_u32_e32 v28, 7, v29
	v_cmp_lt_u64_e32 vcc, s[18:19], v[2:3]
	v_cndmask_b32_e32 v28, v9, v28, vcc
	v_cndmask_b32_e64 v9, 0, 1, vcc
	v_lshrrev_b64 v[2:3], v9, v[2:3]
; %bb.238:
	s_andn2_saveexec_b64 s[0:1], s[0:1]
; %bb.239:
	v_bfe_u32 v28, v2, 23, 1
; %bb.240:
	s_or_b64 exec, exec, s[0:1]
	v_lshrrev_b64 v[2:3], 20, v[2:3]
	v_cmp_gt_i32_e32 vcc, 16, v28
	v_cndmask_b32_e32 v3, 0, v3, vcc
	v_cndmask_b32_e32 v2, 7, v2, vcc
	v_cmp_ne_u32_e32 vcc, 0, v28
	v_cmp_ne_u64_e64 s[0:1], 0, v[2:3]
	s_or_b64 s[0:1], vcc, s[0:1]
                                        ; implicit-def: $vgpr9
	s_and_saveexec_b64 s[18:19], s[0:1]
	s_xor_b64 s[0:1], exec, s[18:19]
; %bb.241:
	v_min_i32_e32 v3, 15, v28
	v_lshl_or_b32 v3, v3, 3, v19
	v_and_or_b32 v9, v2, 7, v3
                                        ; implicit-def: $vgpr19
; %bb.242:
	s_andn2_saveexec_b64 s[0:1], s[0:1]
; %bb.243:
	v_mov_b32_e32 v9, v19
; %bb.244:
	s_or_b64 exec, exec, s[0:1]
.LBB7_245:
	s_or_b64 exec, exec, s[16:17]
.LBB7_246:
	s_andn2_saveexec_b64 s[0:1], s[14:15]
	s_or_b64 exec, exec, s[0:1]
                                        ; implicit-def: $vgpr28
                                        ; implicit-def: $vgpr2_vgpr3
.LBB7_247:
	s_andn2_saveexec_b64 s[0:1], s[8:9]
; %bb.248:
	s_movk_i32 s8, 0x7f
	v_or_b32_sdwa v19, v28, s8 dst_sel:DWORD dst_unused:UNUSED_PAD src0_sel:BYTE_3 src1_sel:DWORD
	v_cmp_eq_u64_e32 vcc, 0, v[2:3]
	v_cndmask_b32_e32 v9, v19, v9, vcc
; %bb.249:
	s_or_b64 exec, exec, s[0:1]
	v_mul_f32_e32 v2, v23, v10
	v_max_f32_e32 v2, 0xc3e00000, v2
	v_min_f32_e32 v28, 0x43e00000, v2
	v_mov_b32_e32 v3, 0
	s_movk_i32 s0, 0x80
	v_and_b32_sdwa v19, v28, s0 dst_sel:DWORD dst_unused:UNUSED_PAD src0_sel:BYTE_3 src1_sel:DWORD
	v_and_b32_e32 v30, 0x7f800000, v28
	v_mov_b32_e32 v31, v3
	s_mov_b64 s[0:1], 0x7f800000
	v_and_b32_e32 v2, 0x7fffff, v28
	v_or_b32_e32 v10, 0x7e, v19
	v_cmp_ne_u64_e32 vcc, s[0:1], v[30:31]
	s_and_saveexec_b64 s[0:1], vcc
	s_xor_b64 s[8:9], exec, s[0:1]
	s_cbranch_execz .LBB7_263
; %bb.250:
	v_and_b32_e32 v30, 0x7fffffff, v28
	v_mov_b32_e32 v31, v3
	s_mov_b64 s[0:1], 0x43e00001
	v_cmp_gt_u64_e32 vcc, s[0:1], v[30:31]
	s_and_saveexec_b64 s[0:1], vcc
	s_xor_b64 s[14:15], exec, s[0:1]
	s_cbranch_execz .LBB7_262
; %bb.251:
	v_cmp_ne_u32_e32 vcc, 0, v28
	v_mov_b32_e32 v10, 0
	s_and_saveexec_b64 s[16:17], vcc
	s_cbranch_execz .LBB7_261
; %bb.252:
	v_bfe_u32 v10, v28, 23, 8
	s_movk_i32 s0, 0x7a
	v_sub_u32_e32 v29, 0x79, v10
	v_cmp_gt_u32_e32 vcc, s0, v10
	v_add_u32_e32 v28, 0xffffff81, v10
	v_cndmask_b32_e32 v29, 0, v29, vcc
	v_mov_b32_e32 v31, 0xffffff82
	v_cmp_eq_u32_e32 vcc, 0, v10
	v_cndmask_b32_e32 v10, v28, v31, vcc
	v_mov_b32_e32 v28, 0x78
	v_cndmask_b32_e32 v34, v29, v28, vcc
	v_add_u32_e32 v28, 20, v34
	v_or_b32_e32 v30, 0x800000, v2
	v_lshlrev_b64 v[28:29], v28, -1
	v_cndmask_b32_e32 v2, v30, v2, vcc
	v_not_b32_e32 v28, v28
	v_and_b32_e32 v30, v2, v28
	v_add_u32_e32 v28, 19, v34
	v_lshrrev_b64 v[2:3], v34, v[2:3]
	v_not_b32_e32 v29, v29
	v_lshlrev_b64 v[32:33], v28, 1
	v_lshrrev_b32_e32 v28, 23, v2
	v_and_b32_e32 v31, 0, v29
	v_add3_u32 v29, v34, v10, v28
	v_bfe_u32 v28, v2, 20, 1
	v_add_u32_e32 v28, -1, v28
	v_cmp_eq_u64_e32 vcc, v[30:31], v[32:33]
	v_cndmask_b32_e32 v28, 0, v28, vcc
	v_add_u32_e32 v28, v28, v2
	v_and_b32_e32 v28, 0xfffff, v28
	v_add_co_u32_e32 v2, vcc, v28, v2
	v_add_u32_e32 v10, 6, v29
	v_addc_co_u32_e32 v3, vcc, 0, v3, vcc
	v_cmp_ne_u32_e32 vcc, 0, v10
                                        ; implicit-def: $vgpr28
	s_and_saveexec_b64 s[0:1], vcc
	s_xor_b64 s[0:1], exec, s[0:1]
; %bb.253:
	s_mov_b64 s[18:19], 0xffffff
	v_add_u32_e32 v28, 7, v29
	v_cmp_lt_u64_e32 vcc, s[18:19], v[2:3]
	v_cndmask_b32_e32 v28, v10, v28, vcc
	v_cndmask_b32_e64 v10, 0, 1, vcc
	v_lshrrev_b64 v[2:3], v10, v[2:3]
; %bb.254:
	s_andn2_saveexec_b64 s[0:1], s[0:1]
; %bb.255:
	v_bfe_u32 v28, v2, 23, 1
; %bb.256:
	s_or_b64 exec, exec, s[0:1]
	v_lshrrev_b64 v[2:3], 20, v[2:3]
	v_cmp_gt_i32_e32 vcc, 16, v28
	v_cndmask_b32_e32 v3, 0, v3, vcc
	v_cndmask_b32_e32 v2, 7, v2, vcc
	v_cmp_ne_u32_e32 vcc, 0, v28
	v_cmp_ne_u64_e64 s[0:1], 0, v[2:3]
	s_or_b64 s[0:1], vcc, s[0:1]
                                        ; implicit-def: $vgpr10
	s_and_saveexec_b64 s[18:19], s[0:1]
	s_xor_b64 s[0:1], exec, s[18:19]
; %bb.257:
	v_min_i32_e32 v3, 15, v28
	v_lshl_or_b32 v3, v3, 3, v19
	v_and_or_b32 v10, v2, 7, v3
                                        ; implicit-def: $vgpr19
; %bb.258:
	s_andn2_saveexec_b64 s[0:1], s[0:1]
; %bb.259:
	v_mov_b32_e32 v10, v19
; %bb.260:
	s_or_b64 exec, exec, s[0:1]
.LBB7_261:
	s_or_b64 exec, exec, s[16:17]
.LBB7_262:
	s_andn2_saveexec_b64 s[0:1], s[14:15]
	s_or_b64 exec, exec, s[0:1]
                                        ; implicit-def: $vgpr28
                                        ; implicit-def: $vgpr2_vgpr3
.LBB7_263:
	s_andn2_saveexec_b64 s[0:1], s[8:9]
; %bb.264:
	s_movk_i32 s8, 0x7f
	v_or_b32_sdwa v19, v28, s8 dst_sel:DWORD dst_unused:UNUSED_PAD src0_sel:BYTE_3 src1_sel:DWORD
	v_cmp_eq_u64_e32 vcc, 0, v[2:3]
	v_cndmask_b32_e32 v10, v19, v10, vcc
; %bb.265:
	s_or_b64 exec, exec, s[0:1]
	v_mul_f32_e32 v2, v23, v11
	v_max_f32_e32 v2, 0xc3e00000, v2
	v_min_f32_e32 v28, 0x43e00000, v2
	v_mov_b32_e32 v3, 0
	s_movk_i32 s0, 0x80
	v_and_b32_sdwa v19, v28, s0 dst_sel:DWORD dst_unused:UNUSED_PAD src0_sel:BYTE_3 src1_sel:DWORD
	v_and_b32_e32 v30, 0x7f800000, v28
	v_mov_b32_e32 v31, v3
	s_mov_b64 s[0:1], 0x7f800000
	v_and_b32_e32 v2, 0x7fffff, v28
	v_or_b32_e32 v11, 0x7e, v19
	v_cmp_ne_u64_e32 vcc, s[0:1], v[30:31]
	s_and_saveexec_b64 s[0:1], vcc
	s_xor_b64 s[8:9], exec, s[0:1]
	s_cbranch_execz .LBB7_279
; %bb.266:
	v_and_b32_e32 v30, 0x7fffffff, v28
	v_mov_b32_e32 v31, v3
	s_mov_b64 s[0:1], 0x43e00001
	v_cmp_gt_u64_e32 vcc, s[0:1], v[30:31]
	s_and_saveexec_b64 s[0:1], vcc
	s_xor_b64 s[14:15], exec, s[0:1]
	s_cbranch_execz .LBB7_278
; %bb.267:
	v_cmp_ne_u32_e32 vcc, 0, v28
	v_mov_b32_e32 v11, 0
	s_and_saveexec_b64 s[16:17], vcc
	s_cbranch_execz .LBB7_277
; %bb.268:
	v_bfe_u32 v11, v28, 23, 8
	s_movk_i32 s0, 0x7a
	v_sub_u32_e32 v29, 0x79, v11
	v_cmp_gt_u32_e32 vcc, s0, v11
	v_add_u32_e32 v28, 0xffffff81, v11
	v_cndmask_b32_e32 v29, 0, v29, vcc
	v_mov_b32_e32 v31, 0xffffff82
	v_cmp_eq_u32_e32 vcc, 0, v11
	v_cndmask_b32_e32 v11, v28, v31, vcc
	v_mov_b32_e32 v28, 0x78
	v_cndmask_b32_e32 v34, v29, v28, vcc
	v_add_u32_e32 v28, 20, v34
	v_or_b32_e32 v30, 0x800000, v2
	v_lshlrev_b64 v[28:29], v28, -1
	v_cndmask_b32_e32 v2, v30, v2, vcc
	v_not_b32_e32 v28, v28
	v_and_b32_e32 v30, v2, v28
	v_add_u32_e32 v28, 19, v34
	v_lshrrev_b64 v[2:3], v34, v[2:3]
	v_not_b32_e32 v29, v29
	v_lshlrev_b64 v[32:33], v28, 1
	v_lshrrev_b32_e32 v28, 23, v2
	v_and_b32_e32 v31, 0, v29
	v_add3_u32 v29, v34, v11, v28
	v_bfe_u32 v28, v2, 20, 1
	v_add_u32_e32 v28, -1, v28
	v_cmp_eq_u64_e32 vcc, v[30:31], v[32:33]
	v_cndmask_b32_e32 v28, 0, v28, vcc
	v_add_u32_e32 v28, v28, v2
	v_and_b32_e32 v28, 0xfffff, v28
	v_add_co_u32_e32 v2, vcc, v28, v2
	v_add_u32_e32 v11, 6, v29
	v_addc_co_u32_e32 v3, vcc, 0, v3, vcc
	v_cmp_ne_u32_e32 vcc, 0, v11
                                        ; implicit-def: $vgpr28
	s_and_saveexec_b64 s[0:1], vcc
	s_xor_b64 s[0:1], exec, s[0:1]
; %bb.269:
	s_mov_b64 s[18:19], 0xffffff
	v_add_u32_e32 v28, 7, v29
	v_cmp_lt_u64_e32 vcc, s[18:19], v[2:3]
	v_cndmask_b32_e32 v28, v11, v28, vcc
	v_cndmask_b32_e64 v11, 0, 1, vcc
	v_lshrrev_b64 v[2:3], v11, v[2:3]
; %bb.270:
	s_andn2_saveexec_b64 s[0:1], s[0:1]
; %bb.271:
	v_bfe_u32 v28, v2, 23, 1
; %bb.272:
	s_or_b64 exec, exec, s[0:1]
	v_lshrrev_b64 v[2:3], 20, v[2:3]
	v_cmp_gt_i32_e32 vcc, 16, v28
	v_cndmask_b32_e32 v3, 0, v3, vcc
	v_cndmask_b32_e32 v2, 7, v2, vcc
	v_cmp_ne_u32_e32 vcc, 0, v28
	v_cmp_ne_u64_e64 s[0:1], 0, v[2:3]
	s_or_b64 s[0:1], vcc, s[0:1]
                                        ; implicit-def: $vgpr11
	s_and_saveexec_b64 s[18:19], s[0:1]
	s_xor_b64 s[0:1], exec, s[18:19]
; %bb.273:
	v_min_i32_e32 v3, 15, v28
	v_lshl_or_b32 v3, v3, 3, v19
	v_and_or_b32 v11, v2, 7, v3
                                        ; implicit-def: $vgpr19
; %bb.274:
	s_andn2_saveexec_b64 s[0:1], s[0:1]
; %bb.275:
	v_mov_b32_e32 v11, v19
; %bb.276:
	s_or_b64 exec, exec, s[0:1]
.LBB7_277:
	s_or_b64 exec, exec, s[16:17]
.LBB7_278:
	s_andn2_saveexec_b64 s[0:1], s[14:15]
	s_or_b64 exec, exec, s[0:1]
                                        ; implicit-def: $vgpr28
                                        ; implicit-def: $vgpr2_vgpr3
.LBB7_279:
	s_andn2_saveexec_b64 s[0:1], s[8:9]
; %bb.280:
	s_movk_i32 s8, 0x7f
	v_or_b32_sdwa v19, v28, s8 dst_sel:DWORD dst_unused:UNUSED_PAD src0_sel:BYTE_3 src1_sel:DWORD
	v_cmp_eq_u64_e32 vcc, 0, v[2:3]
	v_cndmask_b32_e32 v11, v19, v11, vcc
; %bb.281:
	s_or_b64 exec, exec, s[0:1]
	v_mul_f32_e32 v2, v23, v27
	v_max_f32_e32 v2, 0xc3e00000, v2
	v_min_f32_e32 v28, 0x43e00000, v2
	v_mov_b32_e32 v3, 0
	s_movk_i32 s0, 0x80
	v_and_b32_sdwa v27, v28, s0 dst_sel:DWORD dst_unused:UNUSED_PAD src0_sel:BYTE_3 src1_sel:DWORD
	v_and_b32_e32 v30, 0x7f800000, v28
	v_mov_b32_e32 v31, v3
	s_mov_b64 s[0:1], 0x7f800000
	v_and_b32_e32 v2, 0x7fffff, v28
	v_or_b32_e32 v19, 0x7e, v27
	v_cmp_ne_u64_e32 vcc, s[0:1], v[30:31]
	s_and_saveexec_b64 s[0:1], vcc
	s_xor_b64 s[8:9], exec, s[0:1]
	s_cbranch_execz .LBB7_295
; %bb.282:
	v_and_b32_e32 v30, 0x7fffffff, v28
	v_mov_b32_e32 v31, v3
	s_mov_b64 s[0:1], 0x43e00001
	v_cmp_gt_u64_e32 vcc, s[0:1], v[30:31]
	s_and_saveexec_b64 s[0:1], vcc
	s_xor_b64 s[14:15], exec, s[0:1]
	s_cbranch_execz .LBB7_294
; %bb.283:
	v_cmp_ne_u32_e32 vcc, 0, v28
	v_mov_b32_e32 v19, 0
	s_and_saveexec_b64 s[16:17], vcc
	s_cbranch_execz .LBB7_293
; %bb.284:
	v_bfe_u32 v19, v28, 23, 8
	s_movk_i32 s0, 0x7a
	v_sub_u32_e32 v29, 0x79, v19
	v_cmp_gt_u32_e32 vcc, s0, v19
	v_add_u32_e32 v28, 0xffffff81, v19
	v_cndmask_b32_e32 v29, 0, v29, vcc
	v_mov_b32_e32 v31, 0xffffff82
	v_cmp_eq_u32_e32 vcc, 0, v19
	v_cndmask_b32_e32 v19, v28, v31, vcc
	v_mov_b32_e32 v28, 0x78
	v_cndmask_b32_e32 v34, v29, v28, vcc
	v_add_u32_e32 v28, 20, v34
	v_or_b32_e32 v30, 0x800000, v2
	v_lshlrev_b64 v[28:29], v28, -1
	v_cndmask_b32_e32 v2, v30, v2, vcc
	v_not_b32_e32 v28, v28
	v_and_b32_e32 v30, v2, v28
	v_add_u32_e32 v28, 19, v34
	v_lshrrev_b64 v[2:3], v34, v[2:3]
	v_not_b32_e32 v29, v29
	v_lshlrev_b64 v[32:33], v28, 1
	v_lshrrev_b32_e32 v28, 23, v2
	v_and_b32_e32 v31, 0, v29
	v_add3_u32 v29, v34, v19, v28
	v_bfe_u32 v28, v2, 20, 1
	v_add_u32_e32 v28, -1, v28
	v_cmp_eq_u64_e32 vcc, v[30:31], v[32:33]
	v_cndmask_b32_e32 v28, 0, v28, vcc
	v_add_u32_e32 v28, v28, v2
	v_and_b32_e32 v28, 0xfffff, v28
	v_add_co_u32_e32 v2, vcc, v28, v2
	v_add_u32_e32 v19, 6, v29
	v_addc_co_u32_e32 v3, vcc, 0, v3, vcc
	v_cmp_ne_u32_e32 vcc, 0, v19
                                        ; implicit-def: $vgpr28
	s_and_saveexec_b64 s[0:1], vcc
	s_xor_b64 s[0:1], exec, s[0:1]
; %bb.285:
	s_mov_b64 s[18:19], 0xffffff
	v_add_u32_e32 v28, 7, v29
	v_cmp_lt_u64_e32 vcc, s[18:19], v[2:3]
	v_cndmask_b32_e32 v28, v19, v28, vcc
	v_cndmask_b32_e64 v19, 0, 1, vcc
	v_lshrrev_b64 v[2:3], v19, v[2:3]
; %bb.286:
	s_andn2_saveexec_b64 s[0:1], s[0:1]
; %bb.287:
	v_bfe_u32 v28, v2, 23, 1
; %bb.288:
	s_or_b64 exec, exec, s[0:1]
	v_lshrrev_b64 v[2:3], 20, v[2:3]
	v_cmp_gt_i32_e32 vcc, 16, v28
	v_cndmask_b32_e32 v3, 0, v3, vcc
	v_cndmask_b32_e32 v2, 7, v2, vcc
	v_cmp_ne_u32_e32 vcc, 0, v28
	v_cmp_ne_u64_e64 s[0:1], 0, v[2:3]
	s_or_b64 s[0:1], vcc, s[0:1]
                                        ; implicit-def: $vgpr19
	s_and_saveexec_b64 s[18:19], s[0:1]
	s_xor_b64 s[0:1], exec, s[18:19]
; %bb.289:
	v_min_i32_e32 v3, 15, v28
	v_lshl_or_b32 v3, v3, 3, v27
	v_and_or_b32 v19, v2, 7, v3
                                        ; implicit-def: $vgpr27
; %bb.290:
	s_andn2_saveexec_b64 s[0:1], s[0:1]
; %bb.291:
	v_mov_b32_e32 v19, v27
; %bb.292:
	s_or_b64 exec, exec, s[0:1]
.LBB7_293:
	s_or_b64 exec, exec, s[16:17]
.LBB7_294:
	s_andn2_saveexec_b64 s[0:1], s[14:15]
	s_or_b64 exec, exec, s[0:1]
                                        ; implicit-def: $vgpr28
                                        ; implicit-def: $vgpr2_vgpr3
.LBB7_295:
	s_andn2_saveexec_b64 s[0:1], s[8:9]
; %bb.296:
	s_movk_i32 s8, 0x7f
	v_or_b32_sdwa v27, v28, s8 dst_sel:DWORD dst_unused:UNUSED_PAD src0_sel:BYTE_3 src1_sel:DWORD
	v_cmp_eq_u64_e32 vcc, 0, v[2:3]
	v_cndmask_b32_e32 v19, v27, v19, vcc
; %bb.297:
	s_or_b64 exec, exec, s[0:1]
	v_mul_f32_e32 v2, v23, v26
	v_max_f32_e32 v2, 0xc3e00000, v2
	v_min_f32_e32 v28, 0x43e00000, v2
	v_mov_b32_e32 v3, 0
	s_movk_i32 s0, 0x80
	v_and_b32_sdwa v27, v28, s0 dst_sel:DWORD dst_unused:UNUSED_PAD src0_sel:BYTE_3 src1_sel:DWORD
	v_and_b32_e32 v30, 0x7f800000, v28
	v_mov_b32_e32 v31, v3
	s_mov_b64 s[0:1], 0x7f800000
	v_and_b32_e32 v2, 0x7fffff, v28
	v_or_b32_e32 v26, 0x7e, v27
	v_cmp_ne_u64_e32 vcc, s[0:1], v[30:31]
	s_and_saveexec_b64 s[0:1], vcc
	s_xor_b64 s[8:9], exec, s[0:1]
	s_cbranch_execz .LBB7_311
; %bb.298:
	v_and_b32_e32 v30, 0x7fffffff, v28
	v_mov_b32_e32 v31, v3
	s_mov_b64 s[0:1], 0x43e00001
	v_cmp_gt_u64_e32 vcc, s[0:1], v[30:31]
	s_and_saveexec_b64 s[0:1], vcc
	s_xor_b64 s[14:15], exec, s[0:1]
	s_cbranch_execz .LBB7_310
; %bb.299:
	v_cmp_ne_u32_e32 vcc, 0, v28
	v_mov_b32_e32 v26, 0
	s_and_saveexec_b64 s[16:17], vcc
	s_cbranch_execz .LBB7_309
; %bb.300:
	v_bfe_u32 v26, v28, 23, 8
	s_movk_i32 s0, 0x7a
	v_sub_u32_e32 v29, 0x79, v26
	v_cmp_gt_u32_e32 vcc, s0, v26
	v_add_u32_e32 v28, 0xffffff81, v26
	v_cndmask_b32_e32 v29, 0, v29, vcc
	v_mov_b32_e32 v31, 0xffffff82
	v_cmp_eq_u32_e32 vcc, 0, v26
	v_cndmask_b32_e32 v26, v28, v31, vcc
	v_mov_b32_e32 v28, 0x78
	v_cndmask_b32_e32 v34, v29, v28, vcc
	v_add_u32_e32 v28, 20, v34
	v_or_b32_e32 v30, 0x800000, v2
	v_lshlrev_b64 v[28:29], v28, -1
	v_cndmask_b32_e32 v2, v30, v2, vcc
	v_not_b32_e32 v28, v28
	v_and_b32_e32 v30, v2, v28
	v_add_u32_e32 v28, 19, v34
	v_lshrrev_b64 v[2:3], v34, v[2:3]
	v_not_b32_e32 v29, v29
	v_lshlrev_b64 v[32:33], v28, 1
	v_lshrrev_b32_e32 v28, 23, v2
	v_and_b32_e32 v31, 0, v29
	v_add3_u32 v29, v34, v26, v28
	v_bfe_u32 v28, v2, 20, 1
	v_add_u32_e32 v28, -1, v28
	v_cmp_eq_u64_e32 vcc, v[30:31], v[32:33]
	v_cndmask_b32_e32 v28, 0, v28, vcc
	v_add_u32_e32 v28, v28, v2
	v_and_b32_e32 v28, 0xfffff, v28
	v_add_co_u32_e32 v2, vcc, v28, v2
	v_add_u32_e32 v26, 6, v29
	v_addc_co_u32_e32 v3, vcc, 0, v3, vcc
	v_cmp_ne_u32_e32 vcc, 0, v26
                                        ; implicit-def: $vgpr28
	s_and_saveexec_b64 s[0:1], vcc
	s_xor_b64 s[0:1], exec, s[0:1]
; %bb.301:
	s_mov_b64 s[18:19], 0xffffff
	v_add_u32_e32 v28, 7, v29
	v_cmp_lt_u64_e32 vcc, s[18:19], v[2:3]
	v_cndmask_b32_e32 v28, v26, v28, vcc
	v_cndmask_b32_e64 v26, 0, 1, vcc
	v_lshrrev_b64 v[2:3], v26, v[2:3]
; %bb.302:
	s_andn2_saveexec_b64 s[0:1], s[0:1]
; %bb.303:
	v_bfe_u32 v28, v2, 23, 1
; %bb.304:
	s_or_b64 exec, exec, s[0:1]
	v_lshrrev_b64 v[2:3], 20, v[2:3]
	v_cmp_gt_i32_e32 vcc, 16, v28
	v_cndmask_b32_e32 v3, 0, v3, vcc
	v_cndmask_b32_e32 v2, 7, v2, vcc
	v_cmp_ne_u32_e32 vcc, 0, v28
	v_cmp_ne_u64_e64 s[0:1], 0, v[2:3]
	s_or_b64 s[0:1], vcc, s[0:1]
                                        ; implicit-def: $vgpr26
	s_and_saveexec_b64 s[18:19], s[0:1]
	s_xor_b64 s[0:1], exec, s[18:19]
; %bb.305:
	v_min_i32_e32 v3, 15, v28
	v_lshl_or_b32 v3, v3, 3, v27
	v_and_or_b32 v26, v2, 7, v3
                                        ; implicit-def: $vgpr27
; %bb.306:
	s_andn2_saveexec_b64 s[0:1], s[0:1]
; %bb.307:
	v_mov_b32_e32 v26, v27
; %bb.308:
	s_or_b64 exec, exec, s[0:1]
.LBB7_309:
	s_or_b64 exec, exec, s[16:17]
.LBB7_310:
	s_andn2_saveexec_b64 s[0:1], s[14:15]
	s_or_b64 exec, exec, s[0:1]
                                        ; implicit-def: $vgpr28
                                        ; implicit-def: $vgpr2_vgpr3
.LBB7_311:
	s_andn2_saveexec_b64 s[0:1], s[8:9]
; %bb.312:
	s_movk_i32 s8, 0x7f
	v_or_b32_sdwa v27, v28, s8 dst_sel:DWORD dst_unused:UNUSED_PAD src0_sel:BYTE_3 src1_sel:DWORD
	v_cmp_eq_u64_e32 vcc, 0, v[2:3]
	v_cndmask_b32_e32 v26, v27, v26, vcc
; %bb.313:
	s_or_b64 exec, exec, s[0:1]
	v_mul_f32_e32 v2, v23, v24
	v_max_f32_e32 v2, 0xc3e00000, v2
	v_min_f32_e32 v28, 0x43e00000, v2
	v_mov_b32_e32 v3, 0
	s_movk_i32 s0, 0x80
	v_and_b32_sdwa v27, v28, s0 dst_sel:DWORD dst_unused:UNUSED_PAD src0_sel:BYTE_3 src1_sel:DWORD
	v_and_b32_e32 v30, 0x7f800000, v28
	v_mov_b32_e32 v31, v3
	s_mov_b64 s[0:1], 0x7f800000
	v_and_b32_e32 v2, 0x7fffff, v28
	v_or_b32_e32 v24, 0x7e, v27
	v_cmp_ne_u64_e32 vcc, s[0:1], v[30:31]
	s_and_saveexec_b64 s[0:1], vcc
	s_xor_b64 s[8:9], exec, s[0:1]
	s_cbranch_execz .LBB7_327
; %bb.314:
	v_and_b32_e32 v30, 0x7fffffff, v28
	v_mov_b32_e32 v31, v3
	s_mov_b64 s[0:1], 0x43e00001
	v_cmp_gt_u64_e32 vcc, s[0:1], v[30:31]
	s_and_saveexec_b64 s[0:1], vcc
	s_xor_b64 s[14:15], exec, s[0:1]
	s_cbranch_execz .LBB7_326
; %bb.315:
	v_cmp_ne_u32_e32 vcc, 0, v28
	v_mov_b32_e32 v24, 0
	s_and_saveexec_b64 s[16:17], vcc
	s_cbranch_execz .LBB7_325
; %bb.316:
	v_bfe_u32 v24, v28, 23, 8
	s_movk_i32 s0, 0x7a
	v_sub_u32_e32 v29, 0x79, v24
	v_cmp_gt_u32_e32 vcc, s0, v24
	v_add_u32_e32 v28, 0xffffff81, v24
	v_cndmask_b32_e32 v29, 0, v29, vcc
	v_mov_b32_e32 v31, 0xffffff82
	v_cmp_eq_u32_e32 vcc, 0, v24
	v_cndmask_b32_e32 v24, v28, v31, vcc
	v_mov_b32_e32 v28, 0x78
	v_cndmask_b32_e32 v34, v29, v28, vcc
	v_add_u32_e32 v28, 20, v34
	v_or_b32_e32 v30, 0x800000, v2
	v_lshlrev_b64 v[28:29], v28, -1
	v_cndmask_b32_e32 v2, v30, v2, vcc
	v_not_b32_e32 v28, v28
	v_and_b32_e32 v30, v2, v28
	v_add_u32_e32 v28, 19, v34
	v_lshrrev_b64 v[2:3], v34, v[2:3]
	v_not_b32_e32 v29, v29
	v_lshlrev_b64 v[32:33], v28, 1
	v_lshrrev_b32_e32 v28, 23, v2
	v_and_b32_e32 v31, 0, v29
	v_add3_u32 v29, v34, v24, v28
	v_bfe_u32 v28, v2, 20, 1
	v_add_u32_e32 v28, -1, v28
	v_cmp_eq_u64_e32 vcc, v[30:31], v[32:33]
	v_cndmask_b32_e32 v28, 0, v28, vcc
	v_add_u32_e32 v28, v28, v2
	v_and_b32_e32 v28, 0xfffff, v28
	v_add_co_u32_e32 v2, vcc, v28, v2
	v_add_u32_e32 v24, 6, v29
	v_addc_co_u32_e32 v3, vcc, 0, v3, vcc
	v_cmp_ne_u32_e32 vcc, 0, v24
                                        ; implicit-def: $vgpr28
	s_and_saveexec_b64 s[0:1], vcc
	s_xor_b64 s[0:1], exec, s[0:1]
; %bb.317:
	s_mov_b64 s[18:19], 0xffffff
	v_add_u32_e32 v28, 7, v29
	v_cmp_lt_u64_e32 vcc, s[18:19], v[2:3]
	v_cndmask_b32_e32 v28, v24, v28, vcc
	v_cndmask_b32_e64 v24, 0, 1, vcc
	v_lshrrev_b64 v[2:3], v24, v[2:3]
; %bb.318:
	s_andn2_saveexec_b64 s[0:1], s[0:1]
; %bb.319:
	v_bfe_u32 v28, v2, 23, 1
; %bb.320:
	s_or_b64 exec, exec, s[0:1]
	v_lshrrev_b64 v[2:3], 20, v[2:3]
	v_cmp_gt_i32_e32 vcc, 16, v28
	v_cndmask_b32_e32 v3, 0, v3, vcc
	v_cndmask_b32_e32 v2, 7, v2, vcc
	v_cmp_ne_u32_e32 vcc, 0, v28
	v_cmp_ne_u64_e64 s[0:1], 0, v[2:3]
	s_or_b64 s[0:1], vcc, s[0:1]
                                        ; implicit-def: $vgpr24
	s_and_saveexec_b64 s[18:19], s[0:1]
	s_xor_b64 s[0:1], exec, s[18:19]
; %bb.321:
	v_min_i32_e32 v3, 15, v28
	v_lshl_or_b32 v3, v3, 3, v27
	v_and_or_b32 v24, v2, 7, v3
                                        ; implicit-def: $vgpr27
; %bb.322:
	s_andn2_saveexec_b64 s[0:1], s[0:1]
; %bb.323:
	v_mov_b32_e32 v24, v27
; %bb.324:
	s_or_b64 exec, exec, s[0:1]
.LBB7_325:
	s_or_b64 exec, exec, s[16:17]
.LBB7_326:
	s_andn2_saveexec_b64 s[0:1], s[14:15]
	s_or_b64 exec, exec, s[0:1]
                                        ; implicit-def: $vgpr28
                                        ; implicit-def: $vgpr2_vgpr3
.LBB7_327:
	s_andn2_saveexec_b64 s[0:1], s[8:9]
; %bb.328:
	s_movk_i32 s8, 0x7f
	v_or_b32_sdwa v27, v28, s8 dst_sel:DWORD dst_unused:UNUSED_PAD src0_sel:BYTE_3 src1_sel:DWORD
	v_cmp_eq_u64_e32 vcc, 0, v[2:3]
	v_cndmask_b32_e32 v24, v27, v24, vcc
; %bb.329:
	s_or_b64 exec, exec, s[0:1]
	v_mul_f32_e32 v2, v23, v22
	v_max_f32_e32 v2, 0xc3e00000, v2
	v_min_f32_e32 v27, 0x43e00000, v2
	v_mov_b32_e32 v3, 0
	s_movk_i32 s0, 0x80
	v_and_b32_sdwa v22, v27, s0 dst_sel:DWORD dst_unused:UNUSED_PAD src0_sel:BYTE_3 src1_sel:DWORD
	v_and_b32_e32 v28, 0x7f800000, v27
	v_mov_b32_e32 v29, v3
	s_mov_b64 s[0:1], 0x7f800000
	v_and_b32_e32 v2, 0x7fffff, v27
	v_or_b32_e32 v23, 0x7e, v22
	v_cmp_ne_u64_e32 vcc, s[0:1], v[28:29]
	s_and_saveexec_b64 s[0:1], vcc
	s_xor_b64 s[8:9], exec, s[0:1]
	s_cbranch_execz .LBB7_343
; %bb.330:
	v_and_b32_e32 v28, 0x7fffffff, v27
	v_mov_b32_e32 v29, v3
	s_mov_b64 s[0:1], 0x43e00001
	v_cmp_gt_u64_e32 vcc, s[0:1], v[28:29]
	s_and_saveexec_b64 s[0:1], vcc
	s_xor_b64 s[14:15], exec, s[0:1]
	s_cbranch_execz .LBB7_342
; %bb.331:
	v_cmp_ne_u32_e32 vcc, 0, v27
	v_mov_b32_e32 v23, 0
	s_and_saveexec_b64 s[16:17], vcc
	s_cbranch_execz .LBB7_341
; %bb.332:
	v_bfe_u32 v23, v27, 23, 8
	s_movk_i32 s0, 0x7a
	v_sub_u32_e32 v28, 0x79, v23
	v_cmp_gt_u32_e32 vcc, s0, v23
	v_add_u32_e32 v27, 0xffffff81, v23
	v_cndmask_b32_e32 v28, 0, v28, vcc
	v_mov_b32_e32 v30, 0xffffff82
	v_cmp_eq_u32_e32 vcc, 0, v23
	v_cndmask_b32_e32 v23, v27, v30, vcc
	v_mov_b32_e32 v27, 0x78
	v_cndmask_b32_e32 v27, v28, v27, vcc
	v_or_b32_e32 v29, 0x800000, v2
	v_add_u32_e32 v28, 20, v27
	v_cndmask_b32_e32 v2, v29, v2, vcc
	v_lshlrev_b64 v[28:29], v28, -1
	v_not_b32_e32 v28, v28
	v_and_b32_e32 v30, v2, v28
	v_add_u32_e32 v28, 19, v27
	v_lshrrev_b64 v[2:3], v27, v[2:3]
	v_not_b32_e32 v29, v29
	v_lshlrev_b64 v[32:33], v28, 1
	v_lshrrev_b32_e32 v28, 23, v2
	v_and_b32_e32 v31, 0, v29
	v_add3_u32 v28, v27, v23, v28
	v_bfe_u32 v27, v2, 20, 1
	v_add_u32_e32 v27, -1, v27
	v_cmp_eq_u64_e32 vcc, v[30:31], v[32:33]
	v_cndmask_b32_e32 v27, 0, v27, vcc
	v_add_u32_e32 v27, v27, v2
	v_and_b32_e32 v27, 0xfffff, v27
	v_add_co_u32_e32 v2, vcc, v27, v2
	v_add_u32_e32 v23, 6, v28
	v_addc_co_u32_e32 v3, vcc, 0, v3, vcc
	v_cmp_ne_u32_e32 vcc, 0, v23
                                        ; implicit-def: $vgpr27
	s_and_saveexec_b64 s[0:1], vcc
	s_xor_b64 s[0:1], exec, s[0:1]
; %bb.333:
	s_mov_b64 s[18:19], 0xffffff
	v_add_u32_e32 v27, 7, v28
	v_cmp_lt_u64_e32 vcc, s[18:19], v[2:3]
	v_cndmask_b32_e32 v27, v23, v27, vcc
	v_cndmask_b32_e64 v23, 0, 1, vcc
	v_lshrrev_b64 v[2:3], v23, v[2:3]
; %bb.334:
	s_andn2_saveexec_b64 s[0:1], s[0:1]
; %bb.335:
	v_bfe_u32 v27, v2, 23, 1
; %bb.336:
	s_or_b64 exec, exec, s[0:1]
	v_lshrrev_b64 v[2:3], 20, v[2:3]
	v_cmp_gt_i32_e32 vcc, 16, v27
	v_cndmask_b32_e32 v3, 0, v3, vcc
	v_cndmask_b32_e32 v2, 7, v2, vcc
	v_cmp_ne_u32_e32 vcc, 0, v27
	v_cmp_ne_u64_e64 s[0:1], 0, v[2:3]
	s_or_b64 s[0:1], vcc, s[0:1]
                                        ; implicit-def: $vgpr23
	s_and_saveexec_b64 s[18:19], s[0:1]
	s_xor_b64 s[0:1], exec, s[18:19]
; %bb.337:
	v_min_i32_e32 v3, 15, v27
	v_lshl_or_b32 v3, v3, 3, v22
	v_and_or_b32 v23, v2, 7, v3
                                        ; implicit-def: $vgpr22
; %bb.338:
	s_andn2_saveexec_b64 s[0:1], s[0:1]
; %bb.339:
	v_mov_b32_e32 v23, v22
; %bb.340:
	s_or_b64 exec, exec, s[0:1]
.LBB7_341:
	s_or_b64 exec, exec, s[16:17]
.LBB7_342:
	s_andn2_saveexec_b64 s[0:1], s[14:15]
	s_or_b64 exec, exec, s[0:1]
                                        ; implicit-def: $vgpr27
                                        ; implicit-def: $vgpr2_vgpr3
.LBB7_343:
	s_andn2_saveexec_b64 s[0:1], s[8:9]
; %bb.344:
	s_movk_i32 s8, 0x7f
	v_or_b32_sdwa v22, v27, s8 dst_sel:DWORD dst_unused:UNUSED_PAD src0_sel:BYTE_3 src1_sel:DWORD
	v_cmp_eq_u64_e32 vcc, 0, v[2:3]
	v_cndmask_b32_e32 v23, v22, v23, vcc
; %bb.345:
	s_or_b64 exec, exec, s[0:1]
	v_lshlrev_b64 v[2:3], 3, v[14:15]
	v_mov_b32_e32 v14, 0x240
	v_mad_i64_i32 v[14:15], s[0:1], s20, v14, v[16:17]
	v_add_co_u32_e32 v2, vcc, v14, v2
	v_lshlrev_b16_e32 v5, 8, v5
	v_addc_co_u32_e32 v3, vcc, v15, v3, vcc
	v_or_b32_sdwa v4, v4, v5 dst_sel:DWORD dst_unused:UNUSED_PAD src0_sel:BYTE_0 src1_sel:DWORD
	v_lshlrev_b16_e32 v5, 8, v7
	v_add_co_u32_e32 v14, vcc, v12, v46
	v_lshlrev_b16_e32 v9, 8, v9
	v_or_b32_sdwa v5, v6, v5 dst_sel:WORD_1 dst_unused:UNUSED_PAD src0_sel:BYTE_0 src1_sel:DWORD
	v_addc_co_u32_e32 v15, vcc, 0, v13, vcc
	v_lshlrev_b16_e32 v12, 8, v26
	v_lshlrev_b16_e32 v13, 8, v23
	v_or_b32_sdwa v8, v8, v9 dst_sel:DWORD dst_unused:UNUSED_PAD src0_sel:BYTE_0 src1_sel:DWORD
	v_lshlrev_b16_e32 v9, 8, v11
	v_or_b32_sdwa v11, v4, v5 dst_sel:DWORD dst_unused:UNUSED_PAD src0_sel:WORD_0 src1_sel:DWORD
	v_lshlrev_b16_e32 v1, 8, v1
	v_lshlrev_b16_e32 v4, 8, v18
	v_or_b32_sdwa v12, v19, v12 dst_sel:DWORD dst_unused:UNUSED_PAD src0_sel:BYTE_0 src1_sel:DWORD
	v_or_b32_sdwa v13, v24, v13 dst_sel:WORD_1 dst_unused:UNUSED_PAD src0_sel:BYTE_0 src1_sel:DWORD
	v_or_b32_sdwa v9, v10, v9 dst_sel:WORD_1 dst_unused:UNUSED_PAD src0_sel:BYTE_0 src1_sel:DWORD
	v_or_b32_sdwa v1, v21, v1 dst_sel:DWORD dst_unused:UNUSED_PAD src0_sel:BYTE_0 src1_sel:DWORD
	v_or_b32_sdwa v4, v25, v4 dst_sel:WORD_1 dst_unused:UNUSED_PAD src0_sel:BYTE_0 src1_sel:DWORD
	v_and_b32_e32 v0, 3, v0
	v_or_b32_sdwa v13, v12, v13 dst_sel:DWORD dst_unused:UNUSED_PAD src0_sel:WORD_0 src1_sel:DWORD
	v_or_b32_sdwa v12, v8, v9 dst_sel:DWORD dst_unused:UNUSED_PAD src0_sel:WORD_0 src1_sel:DWORD
	;; [unrolled: 1-line block ×3, first 2 shown]
	v_cmp_eq_u32_e32 vcc, 0, v0
	global_store_dwordx4 v[14:15], v[10:13], off
	s_and_saveexec_b64 s[0:1], vcc
	s_cbranch_execz .LBB7_347
; %bb.346:
	v_add_f32_e32 v1, 0x42fe0000, v20
	v_min_f32_e32 v1, 0x437f0000, v1
	v_max_f32_e32 v1, 0, v1
	v_cvt_i32_f32_e32 v4, v1
	v_lshrrev_b32_e32 v0, 2, v47
	v_add_co_u32_e32 v0, vcc, v2, v0
	v_addc_co_u32_e32 v1, vcc, 0, v3, vcc
	global_store_byte v[0:1], v4, off
.LBB7_347:
	s_or_b64 exec, exec, s[0:1]
	v_cmp_eq_u32_e32 vcc, 0, v47
	s_and_saveexec_b64 s[0:1], vcc
	s_cbranch_execz .LBB7_349
; %bb.348:
	v_mov_b32_e32 v0, 0
	global_store_byte v[2:3], v0, off offset:7
.LBB7_349:
	s_or_b64 exec, exec, s[0:1]
                                        ; implicit-def: $vgpr46
                                        ; implicit-def: $vgpr29
                                        ; implicit-def: $vgpr34
                                        ; implicit-def: $vgpr35
                                        ; implicit-def: $vgpr36
                                        ; implicit-def: $vgpr37
                                        ; implicit-def: $vgpr38
                                        ; implicit-def: $vgpr39
                                        ; implicit-def: $vgpr40
                                        ; implicit-def: $vgpr41
                                        ; implicit-def: $vgpr42
                                        ; implicit-def: $vgpr43
                                        ; implicit-def: $vgpr44
                                        ; implicit-def: $vgpr45
                                        ; implicit-def: $vgpr48
                                        ; implicit-def: $vgpr49
                                        ; implicit-def: $vgpr50
                                        ; implicit-def: $vgpr12_vgpr13
.LBB7_350:
	s_andn2_saveexec_b64 s[0:1], s[2:3]
                                        ; implicit-def: $vgpr11
	s_cbranch_execz .LBB7_352
; %bb.351:
	v_lshlrev_b32_e32 v0, 1, v46
	v_add_co_u32_e32 v4, vcc, v12, v0
	s_mov_b32 s0, 0x7060302
	v_addc_co_u32_e32 v5, vcc, 0, v13, vcc
	v_perm_b32 v3, v40, v39, s0
	v_perm_b32 v2, v38, v37, s0
	v_perm_b32 v1, v36, v35, s0
	v_perm_b32 v0, v34, v29, s0
	global_store_dwordx4 v[4:5], v[0:3], off offset:-448
	s_nop 0
	v_perm_b32 v3, v50, v49, s0
	v_perm_b32 v2, v48, v45, s0
	;; [unrolled: 1-line block ×4, first 2 shown]
	global_store_dwordx4 v[4:5], v[0:3], off offset:-432
.LBB7_352:
	s_or_b64 exec, exec, s[10:11]
                                        ; implicit-def: $vgpr10
                                        ; implicit-def: $vgpr44
                                        ; implicit-def: $vgpr46
                                        ; implicit-def: $vgpr12_vgpr13_vgpr14_vgpr15_vgpr16_vgpr17_vgpr18_vgpr19_vgpr20_vgpr21_vgpr22_vgpr23_vgpr24_vgpr25_vgpr26_vgpr27
	s_andn2_saveexec_b64 s[0:1], s[12:13]
	s_cbranch_execz .LBB7_17
.LBB7_353:
	s_mov_b32 s2, 0x7f800000
	v_and_b32_e32 v0, 0x7f800000, v12
	v_cmp_ne_u32_e32 vcc, s2, v0
                                        ; implicit-def: $vgpr0
	s_and_saveexec_b64 s[2:3], vcc
	s_xor_b64 s[2:3], exec, s[2:3]
; %bb.354:
	v_bfe_u32 v0, v12, 16, 1
	s_movk_i32 s8, 0x7fff
	v_add3_u32 v0, v12, v0, s8
; %bb.355:
	s_andn2_saveexec_b64 s[2:3], s[2:3]
; %bb.356:
	v_mov_b32_e32 v0, 0
	v_or_b32_e32 v1, 0x10000, v12
	v_cmp_eq_u32_sdwa vcc, v12, v0 src0_sel:WORD_0 src1_sel:DWORD
	v_cndmask_b32_e32 v0, v1, v12, vcc
; %bb.357:
	s_or_b64 exec, exec, s[2:3]
	s_mov_b32 s2, 0x7f800000
	v_and_b32_e32 v1, 0x7f800000, v13
	v_cmp_ne_u32_e32 vcc, s2, v1
                                        ; implicit-def: $vgpr1
	s_and_saveexec_b64 s[2:3], vcc
	s_xor_b64 s[2:3], exec, s[2:3]
; %bb.358:
	v_bfe_u32 v1, v13, 16, 1
	s_movk_i32 s8, 0x7fff
	v_add3_u32 v1, v13, v1, s8
; %bb.359:
	s_andn2_saveexec_b64 s[2:3], s[2:3]
; %bb.360:
	v_mov_b32_e32 v1, 0
	v_or_b32_e32 v2, 0x10000, v13
	v_cmp_eq_u32_sdwa vcc, v13, v1 src0_sel:WORD_0 src1_sel:DWORD
	v_cndmask_b32_e32 v1, v2, v13, vcc
; %bb.361:
	s_or_b64 exec, exec, s[2:3]
	s_mov_b32 s2, 0x7f800000
	v_and_b32_e32 v2, 0x7f800000, v14
	v_cmp_ne_u32_e32 vcc, s2, v2
                                        ; implicit-def: $vgpr2
	s_and_saveexec_b64 s[2:3], vcc
	s_xor_b64 s[2:3], exec, s[2:3]
; %bb.362:
	v_bfe_u32 v2, v14, 16, 1
	s_movk_i32 s8, 0x7fff
	v_add3_u32 v2, v14, v2, s8
; %bb.363:
	s_andn2_saveexec_b64 s[2:3], s[2:3]
; %bb.364:
	v_mov_b32_e32 v2, 0
	v_or_b32_e32 v3, 0x10000, v14
	v_cmp_eq_u32_sdwa vcc, v14, v2 src0_sel:WORD_0 src1_sel:DWORD
	v_cndmask_b32_e32 v2, v3, v14, vcc
; %bb.365:
	s_or_b64 exec, exec, s[2:3]
	s_mov_b32 s2, 0x7f800000
	v_and_b32_e32 v3, 0x7f800000, v15
	v_cmp_ne_u32_e32 vcc, s2, v3
                                        ; implicit-def: $vgpr3
	s_and_saveexec_b64 s[2:3], vcc
	s_xor_b64 s[2:3], exec, s[2:3]
; %bb.366:
	v_bfe_u32 v3, v15, 16, 1
	s_movk_i32 s8, 0x7fff
	v_add3_u32 v3, v15, v3, s8
; %bb.367:
	s_andn2_saveexec_b64 s[2:3], s[2:3]
; %bb.368:
	v_mov_b32_e32 v3, 0
	v_or_b32_e32 v4, 0x10000, v15
	v_cmp_eq_u32_sdwa vcc, v15, v3 src0_sel:WORD_0 src1_sel:DWORD
	v_cndmask_b32_e32 v3, v4, v15, vcc
; %bb.369:
	s_or_b64 exec, exec, s[2:3]
	s_mov_b32 s2, 0x7f800000
	v_and_b32_e32 v4, 0x7f800000, v16
	v_cmp_ne_u32_e32 vcc, s2, v4
                                        ; implicit-def: $vgpr4
	s_and_saveexec_b64 s[2:3], vcc
	s_xor_b64 s[2:3], exec, s[2:3]
; %bb.370:
	v_bfe_u32 v4, v16, 16, 1
	s_movk_i32 s8, 0x7fff
	v_add3_u32 v4, v16, v4, s8
; %bb.371:
	s_andn2_saveexec_b64 s[2:3], s[2:3]
; %bb.372:
	v_mov_b32_e32 v4, 0
	v_or_b32_e32 v5, 0x10000, v16
	v_cmp_eq_u32_sdwa vcc, v16, v4 src0_sel:WORD_0 src1_sel:DWORD
	v_cndmask_b32_e32 v4, v5, v16, vcc
; %bb.373:
	s_or_b64 exec, exec, s[2:3]
	s_mov_b32 s2, 0x7f800000
	v_and_b32_e32 v5, 0x7f800000, v17
	v_cmp_ne_u32_e32 vcc, s2, v5
                                        ; implicit-def: $vgpr5
	s_and_saveexec_b64 s[2:3], vcc
	s_xor_b64 s[2:3], exec, s[2:3]
; %bb.374:
	v_bfe_u32 v5, v17, 16, 1
	s_movk_i32 s8, 0x7fff
	v_add3_u32 v5, v17, v5, s8
; %bb.375:
	s_andn2_saveexec_b64 s[2:3], s[2:3]
; %bb.376:
	v_mov_b32_e32 v5, 0
	v_or_b32_e32 v6, 0x10000, v17
	v_cmp_eq_u32_sdwa vcc, v17, v5 src0_sel:WORD_0 src1_sel:DWORD
	v_cndmask_b32_e32 v5, v6, v17, vcc
; %bb.377:
	s_or_b64 exec, exec, s[2:3]
	s_mov_b32 s2, 0x7f800000
	v_and_b32_e32 v6, 0x7f800000, v18
	v_cmp_ne_u32_e32 vcc, s2, v6
                                        ; implicit-def: $vgpr6
	s_and_saveexec_b64 s[2:3], vcc
	s_xor_b64 s[2:3], exec, s[2:3]
; %bb.378:
	v_bfe_u32 v6, v18, 16, 1
	s_movk_i32 s8, 0x7fff
	v_add3_u32 v6, v18, v6, s8
; %bb.379:
	s_andn2_saveexec_b64 s[2:3], s[2:3]
; %bb.380:
	v_mov_b32_e32 v6, 0
	v_or_b32_e32 v7, 0x10000, v18
	v_cmp_eq_u32_sdwa vcc, v18, v6 src0_sel:WORD_0 src1_sel:DWORD
	v_cndmask_b32_e32 v6, v7, v18, vcc
; %bb.381:
	s_or_b64 exec, exec, s[2:3]
	s_mov_b32 s2, 0x7f800000
	s_waitcnt lgkmcnt(0)
	v_and_b32_e32 v7, 0x7f800000, v19
	v_cmp_ne_u32_e32 vcc, s2, v7
                                        ; implicit-def: $vgpr7
	s_and_saveexec_b64 s[2:3], vcc
	s_xor_b64 s[2:3], exec, s[2:3]
; %bb.382:
	v_bfe_u32 v7, v19, 16, 1
	s_movk_i32 s8, 0x7fff
	v_add3_u32 v7, v19, v7, s8
; %bb.383:
	s_andn2_saveexec_b64 s[2:3], s[2:3]
; %bb.384:
	v_mov_b32_e32 v7, 0
	v_or_b32_e32 v8, 0x10000, v19
	v_cmp_eq_u32_sdwa vcc, v19, v7 src0_sel:WORD_0 src1_sel:DWORD
	v_cndmask_b32_e32 v7, v8, v19, vcc
; %bb.385:
	s_or_b64 exec, exec, s[2:3]
	s_mov_b32 s2, 0x7f800000
	v_and_b32_e32 v8, 0x7f800000, v20
	v_cmp_ne_u32_e32 vcc, s2, v8
                                        ; implicit-def: $vgpr8
	s_and_saveexec_b64 s[2:3], vcc
	s_xor_b64 s[2:3], exec, s[2:3]
; %bb.386:
	v_bfe_u32 v8, v20, 16, 1
	s_movk_i32 s8, 0x7fff
	v_add3_u32 v8, v20, v8, s8
; %bb.387:
	s_andn2_saveexec_b64 s[2:3], s[2:3]
; %bb.388:
	v_mov_b32_e32 v8, 0
	v_or_b32_e32 v9, 0x10000, v20
	v_cmp_eq_u32_sdwa vcc, v20, v8 src0_sel:WORD_0 src1_sel:DWORD
	v_cndmask_b32_e32 v8, v9, v20, vcc
; %bb.389:
	s_or_b64 exec, exec, s[2:3]
	s_mov_b32 s2, 0x7f800000
	v_and_b32_e32 v9, 0x7f800000, v21
	v_cmp_ne_u32_e32 vcc, s2, v9
                                        ; implicit-def: $vgpr9
	s_and_saveexec_b64 s[2:3], vcc
	s_xor_b64 s[2:3], exec, s[2:3]
; %bb.390:
	v_bfe_u32 v9, v21, 16, 1
	s_movk_i32 s8, 0x7fff
	v_add3_u32 v9, v21, v9, s8
; %bb.391:
	s_andn2_saveexec_b64 s[2:3], s[2:3]
; %bb.392:
	v_mov_b32_e32 v9, 0
	v_or_b32_e32 v12, 0x10000, v21
	v_cmp_eq_u32_sdwa vcc, v21, v9 src0_sel:WORD_0 src1_sel:DWORD
	v_cndmask_b32_e32 v9, v12, v21, vcc
; %bb.393:
	s_or_b64 exec, exec, s[2:3]
	s_mov_b32 s2, 0x7f800000
	v_and_b32_e32 v12, 0x7f800000, v22
	v_cmp_ne_u32_e32 vcc, s2, v12
                                        ; implicit-def: $vgpr28
	s_and_saveexec_b64 s[2:3], vcc
	s_xor_b64 s[2:3], exec, s[2:3]
; %bb.394:
	v_bfe_u32 v12, v22, 16, 1
	s_movk_i32 s8, 0x7fff
	v_add3_u32 v28, v22, v12, s8
; %bb.395:
	s_andn2_saveexec_b64 s[2:3], s[2:3]
; %bb.396:
	v_mov_b32_e32 v12, 0
	v_or_b32_e32 v13, 0x10000, v22
	v_cmp_eq_u32_sdwa vcc, v22, v12 src0_sel:WORD_0 src1_sel:DWORD
	v_cndmask_b32_e32 v28, v13, v22, vcc
; %bb.397:
	s_or_b64 exec, exec, s[2:3]
	s_mov_b32 s2, 0x7f800000
	v_and_b32_e32 v12, 0x7f800000, v23
	v_cmp_ne_u32_e32 vcc, s2, v12
                                        ; implicit-def: $vgpr29
	s_and_saveexec_b64 s[2:3], vcc
	s_xor_b64 s[2:3], exec, s[2:3]
; %bb.398:
	v_bfe_u32 v12, v23, 16, 1
	s_movk_i32 s8, 0x7fff
	v_add3_u32 v29, v23, v12, s8
; %bb.399:
	s_andn2_saveexec_b64 s[2:3], s[2:3]
; %bb.400:
	v_mov_b32_e32 v12, 0
	v_or_b32_e32 v13, 0x10000, v23
	v_cmp_eq_u32_sdwa vcc, v23, v12 src0_sel:WORD_0 src1_sel:DWORD
	v_cndmask_b32_e32 v29, v13, v23, vcc
; %bb.401:
	s_or_b64 exec, exec, s[2:3]
	s_mov_b32 s2, 0x7f800000
	v_and_b32_e32 v12, 0x7f800000, v24
	v_cmp_ne_u32_e32 vcc, s2, v12
                                        ; implicit-def: $vgpr30
	s_and_saveexec_b64 s[2:3], vcc
	s_xor_b64 s[2:3], exec, s[2:3]
; %bb.402:
	v_bfe_u32 v12, v24, 16, 1
	s_movk_i32 s8, 0x7fff
	v_add3_u32 v30, v24, v12, s8
; %bb.403:
	s_andn2_saveexec_b64 s[2:3], s[2:3]
; %bb.404:
	v_mov_b32_e32 v12, 0
	v_or_b32_e32 v13, 0x10000, v24
	v_cmp_eq_u32_sdwa vcc, v24, v12 src0_sel:WORD_0 src1_sel:DWORD
	v_cndmask_b32_e32 v30, v13, v24, vcc
; %bb.405:
	s_or_b64 exec, exec, s[2:3]
	s_mov_b32 s2, 0x7f800000
	v_and_b32_e32 v12, 0x7f800000, v25
	v_cmp_ne_u32_e32 vcc, s2, v12
                                        ; implicit-def: $vgpr31
	s_and_saveexec_b64 s[2:3], vcc
	s_xor_b64 s[2:3], exec, s[2:3]
; %bb.406:
	v_bfe_u32 v12, v25, 16, 1
	s_movk_i32 s8, 0x7fff
	v_add3_u32 v31, v25, v12, s8
; %bb.407:
	s_andn2_saveexec_b64 s[2:3], s[2:3]
; %bb.408:
	v_mov_b32_e32 v12, 0
	v_or_b32_e32 v13, 0x10000, v25
	v_cmp_eq_u32_sdwa vcc, v25, v12 src0_sel:WORD_0 src1_sel:DWORD
	v_cndmask_b32_e32 v31, v13, v25, vcc
; %bb.409:
	s_or_b64 exec, exec, s[2:3]
	s_mov_b32 s2, 0x7f800000
	v_and_b32_e32 v12, 0x7f800000, v26
	v_cmp_ne_u32_e32 vcc, s2, v12
                                        ; implicit-def: $vgpr32
	s_and_saveexec_b64 s[2:3], vcc
	s_xor_b64 s[2:3], exec, s[2:3]
; %bb.410:
	v_bfe_u32 v12, v26, 16, 1
	s_movk_i32 s8, 0x7fff
	v_add3_u32 v32, v26, v12, s8
; %bb.411:
	s_andn2_saveexec_b64 s[2:3], s[2:3]
; %bb.412:
	v_mov_b32_e32 v12, 0
	v_or_b32_e32 v13, 0x10000, v26
	v_cmp_eq_u32_sdwa vcc, v26, v12 src0_sel:WORD_0 src1_sel:DWORD
	v_cndmask_b32_e32 v32, v13, v26, vcc
; %bb.413:
	s_or_b64 exec, exec, s[2:3]
	s_mov_b32 s2, 0x7f800000
	v_and_b32_e32 v12, 0x7f800000, v27
	v_cmp_ne_u32_e32 vcc, s2, v12
                                        ; implicit-def: $vgpr33
	s_and_saveexec_b64 s[2:3], vcc
	s_xor_b64 s[2:3], exec, s[2:3]
; %bb.414:
	v_bfe_u32 v12, v27, 16, 1
	s_movk_i32 s8, 0x7fff
	v_add3_u32 v33, v27, v12, s8
                                        ; implicit-def: $vgpr12_vgpr13_vgpr14_vgpr15_vgpr16_vgpr17_vgpr18_vgpr19_vgpr20_vgpr21_vgpr22_vgpr23_vgpr24_vgpr25_vgpr26_vgpr27
; %bb.415:
	s_andn2_saveexec_b64 s[2:3], s[2:3]
; %bb.416:
	v_mov_b32_e32 v12, 0
	v_or_b32_e32 v13, 0x10000, v27
	v_cmp_eq_u32_sdwa vcc, v27, v12 src0_sel:WORD_0 src1_sel:DWORD
	v_cndmask_b32_e32 v33, v13, v27, vcc
; %bb.417:
	s_or_b64 exec, exec, s[2:3]
	v_lshlrev_b64 v[10:11], 15, v[10:11]
	v_ashrrev_i32_e32 v45, 31, v44
	v_mov_b32_e32 v12, s7
	v_add_co_u32_e32 v13, vcc, s6, v10
	v_addc_co_u32_e32 v12, vcc, v12, v11, vcc
	v_lshlrev_b64 v[10:11], 10, v[44:45]
	v_add_co_u32_e32 v10, vcc, v13, v10
	v_addc_co_u32_e32 v11, vcc, v12, v11, vcc
	v_lshlrev_b32_e32 v12, 1, v46
	v_add_co_u32_e32 v10, vcc, v10, v12
	s_mov_b32 s2, 0x7060302
	v_addc_co_u32_e32 v11, vcc, 0, v11, vcc
	v_perm_b32 v7, v7, v6, s2
	v_perm_b32 v6, v5, v4, s2
	;; [unrolled: 1-line block ×8, first 2 shown]
	global_store_dwordx4 v[10:11], v[4:7], off
	global_store_dwordx4 v[10:11], v[0:3], off offset:16
	s_or_b64 exec, exec, s[0:1]
                                        ; implicit-def: $vgpr10
                                        ; implicit-def: $vgpr44
                                        ; implicit-def: $vgpr46
	s_andn2_saveexec_b64 s[0:1], s[4:5]
	s_cbranch_execnz .LBB7_9
	s_branch .LBB7_10
	.section	.rodata,"a",@progbits
	.p2align	6, 0x0
	.amdhsa_kernel _ZN4vllm21deepseek_v4_fused_ops47fusedDeepseekV4QNormRopeKVRopeQuantInsertKernelIN3c108BFloat16ELi32EEEvPKT_PS4_S6_PhPKlSA_PKffiiiii
		.amdhsa_group_segment_fixed_size 0
		.amdhsa_private_segment_fixed_size 0
		.amdhsa_kernarg_size 336
		.amdhsa_user_sgpr_count 6
		.amdhsa_user_sgpr_private_segment_buffer 1
		.amdhsa_user_sgpr_dispatch_ptr 0
		.amdhsa_user_sgpr_queue_ptr 0
		.amdhsa_user_sgpr_kernarg_segment_ptr 1
		.amdhsa_user_sgpr_dispatch_id 0
		.amdhsa_user_sgpr_flat_scratch_init 0
		.amdhsa_user_sgpr_kernarg_preload_length 0
		.amdhsa_user_sgpr_kernarg_preload_offset 0
		.amdhsa_user_sgpr_private_segment_size 0
		.amdhsa_uses_dynamic_stack 0
		.amdhsa_system_sgpr_private_segment_wavefront_offset 0
		.amdhsa_system_sgpr_workgroup_id_x 1
		.amdhsa_system_sgpr_workgroup_id_y 0
		.amdhsa_system_sgpr_workgroup_id_z 0
		.amdhsa_system_sgpr_workgroup_info 0
		.amdhsa_system_vgpr_workitem_id 0
		.amdhsa_next_free_vgpr 56
		.amdhsa_next_free_sgpr 28
		.amdhsa_accum_offset 56
		.amdhsa_reserve_vcc 1
		.amdhsa_reserve_flat_scratch 0
		.amdhsa_float_round_mode_32 0
		.amdhsa_float_round_mode_16_64 0
		.amdhsa_float_denorm_mode_32 3
		.amdhsa_float_denorm_mode_16_64 3
		.amdhsa_dx10_clamp 1
		.amdhsa_ieee_mode 1
		.amdhsa_fp16_overflow 0
		.amdhsa_tg_split 0
		.amdhsa_exception_fp_ieee_invalid_op 0
		.amdhsa_exception_fp_denorm_src 0
		.amdhsa_exception_fp_ieee_div_zero 0
		.amdhsa_exception_fp_ieee_overflow 0
		.amdhsa_exception_fp_ieee_underflow 0
		.amdhsa_exception_fp_ieee_inexact 0
		.amdhsa_exception_int_div_zero 0
	.end_amdhsa_kernel
	.section	.text._ZN4vllm21deepseek_v4_fused_ops47fusedDeepseekV4QNormRopeKVRopeQuantInsertKernelIN3c108BFloat16ELi32EEEvPKT_PS4_S6_PhPKlSA_PKffiiiii,"axG",@progbits,_ZN4vllm21deepseek_v4_fused_ops47fusedDeepseekV4QNormRopeKVRopeQuantInsertKernelIN3c108BFloat16ELi32EEEvPKT_PS4_S6_PhPKlSA_PKffiiiii,comdat
.Lfunc_end7:
	.size	_ZN4vllm21deepseek_v4_fused_ops47fusedDeepseekV4QNormRopeKVRopeQuantInsertKernelIN3c108BFloat16ELi32EEEvPKT_PS4_S6_PhPKlSA_PKffiiiii, .Lfunc_end7-_ZN4vllm21deepseek_v4_fused_ops47fusedDeepseekV4QNormRopeKVRopeQuantInsertKernelIN3c108BFloat16ELi32EEEvPKT_PS4_S6_PhPKlSA_PKffiiiii
                                        ; -- End function
	.section	.AMDGPU.csdata,"",@progbits
; Kernel info:
; codeLenInByte = 14132
; NumSgprs: 32
; NumVgprs: 56
; NumAgprs: 0
; TotalNumVgprs: 56
; ScratchSize: 0
; MemoryBound: 1
; FloatMode: 240
; IeeeMode: 1
; LDSByteSize: 0 bytes/workgroup (compile time only)
; SGPRBlocks: 3
; VGPRBlocks: 6
; NumSGPRsForWavesPerEU: 32
; NumVGPRsForWavesPerEU: 56
; AccumOffset: 56
; Occupancy: 8
; WaveLimiterHint : 1
; COMPUTE_PGM_RSRC2:SCRATCH_EN: 0
; COMPUTE_PGM_RSRC2:USER_SGPR: 6
; COMPUTE_PGM_RSRC2:TRAP_HANDLER: 0
; COMPUTE_PGM_RSRC2:TGID_X_EN: 1
; COMPUTE_PGM_RSRC2:TGID_Y_EN: 0
; COMPUTE_PGM_RSRC2:TGID_Z_EN: 0
; COMPUTE_PGM_RSRC2:TIDIG_COMP_CNT: 0
; COMPUTE_PGM_RSRC3_GFX90A:ACCUM_OFFSET: 13
; COMPUTE_PGM_RSRC3_GFX90A:TG_SPLIT: 0
	.section	.text._ZN4vllm21deepseek_v4_fused_ops47fusedDeepseekV4QNormRopeKVRopeQuantInsertKernelIN3c108BFloat16ELi64EEEvPKT_PS4_S6_PhPKlSA_PKffiiiii,"axG",@progbits,_ZN4vllm21deepseek_v4_fused_ops47fusedDeepseekV4QNormRopeKVRopeQuantInsertKernelIN3c108BFloat16ELi64EEEvPKT_PS4_S6_PhPKlSA_PKffiiiii,comdat
	.protected	_ZN4vllm21deepseek_v4_fused_ops47fusedDeepseekV4QNormRopeKVRopeQuantInsertKernelIN3c108BFloat16ELi64EEEvPKT_PS4_S6_PhPKlSA_PKffiiiii ; -- Begin function _ZN4vllm21deepseek_v4_fused_ops47fusedDeepseekV4QNormRopeKVRopeQuantInsertKernelIN3c108BFloat16ELi64EEEvPKT_PS4_S6_PhPKlSA_PKffiiiii
	.globl	_ZN4vllm21deepseek_v4_fused_ops47fusedDeepseekV4QNormRopeKVRopeQuantInsertKernelIN3c108BFloat16ELi64EEEvPKT_PS4_S6_PhPKlSA_PKffiiiii
	.p2align	8
	.type	_ZN4vllm21deepseek_v4_fused_ops47fusedDeepseekV4QNormRopeKVRopeQuantInsertKernelIN3c108BFloat16ELi64EEEvPKT_PS4_S6_PhPKlSA_PKffiiiii,@function
_ZN4vllm21deepseek_v4_fused_ops47fusedDeepseekV4QNormRopeKVRopeQuantInsertKernelIN3c108BFloat16ELi64EEEvPKT_PS4_S6_PhPKlSA_PKffiiiii: ; @_ZN4vllm21deepseek_v4_fused_ops47fusedDeepseekV4QNormRopeKVRopeQuantInsertKernelIN3c108BFloat16ELi64EEEvPKT_PS4_S6_PhPKlSA_PKffiiiii
; %bb.0:
	s_load_dword s0, s[4:5], 0x5c
	s_load_dwordx4 s[16:19], s[4:5], 0x38
	v_lshrrev_b32_e32 v1, 5, v0
	s_waitcnt lgkmcnt(0)
	s_bfe_u32 s0, s0, 0xb0005
	s_mul_i32 s6, s6, s0
	v_add_u32_e32 v1, s6, v1
	s_mov_b32 s0, 0x7e07e07f
	v_mul_hi_i32 v2, v1, s0
	v_lshrrev_b32_e32 v3, 31, v2
	v_ashrrev_i32_e32 v2, 5, v2
	v_add_u32_e32 v10, v2, v3
	v_cmp_gt_i32_e32 vcc, s17, v10
	s_and_saveexec_b64 s[0:1], vcc
	s_cbranch_execz .LBB8_10
; %bb.1:
	s_load_dwordx2 s[20:21], s[4:5], 0x48
	v_lshl_add_u32 v2, v10, 6, v10
	v_sub_u32_e32 v44, v1, v2
	v_cmp_ne_u32_e64 s[0:1], 64, v44
	v_cmp_gt_i32_e64 s[2:3], s18, v10
	v_cmp_eq_u32_e32 vcc, 64, v44
	s_or_b64 s[2:3], s[0:1], s[2:3]
	s_and_b64 exec, exec, s[2:3]
	s_cbranch_execz .LBB8_10
; %bb.2:
	s_load_dwordx2 s[6:7], s[4:5], 0x8
	s_load_dwordx8 s[8:15], s[4:5], 0x18
	v_cmp_gt_i32_e64 s[2:3], s19, v44
	s_xor_b64 s[22:23], s[0:1], -1
	v_and_b32_e32 v47, 31, v0
	s_or_b64 s[22:23], s[22:23], s[2:3]
	v_lshlrev_b32_e32 v46, 4, v47
	v_ashrrev_i32_e32 v11, 31, v10
                                        ; implicit-def: $vgpr9
                                        ; implicit-def: $vgpr5
	s_and_saveexec_b64 s[24:25], s[22:23]
	s_cbranch_execz .LBB8_11
; %bb.3:
                                        ; implicit-def: $vgpr12_vgpr13
	s_and_saveexec_b64 s[2:3], vcc
	s_xor_b64 s[26:27], exec, s[2:3]
	s_cbranch_execz .LBB8_5
; %bb.4:
	s_load_dwordx2 s[2:3], s[4:5], 0x10
	v_lshlrev_b64 v[2:3], 10, v[10:11]
	s_waitcnt lgkmcnt(0)
	v_mov_b32_e32 v1, s3
	v_add_co_u32_e64 v2, s[2:3], s2, v2
	v_addc_co_u32_e64 v1, s[2:3], v1, v3, s[2:3]
	v_lshlrev_b32_e32 v3, 1, v46
	v_add_co_u32_e64 v12, s[2:3], v2, v3
	v_addc_co_u32_e64 v13, s[2:3], 0, v1, s[2:3]
.LBB8_5:
	s_andn2_saveexec_b64 s[26:27], s[26:27]
	s_cbranch_execz .LBB8_7
; %bb.6:
	s_load_dwordx2 s[2:3], s[4:5], 0x0
	v_ashrrev_i32_e32 v45, 31, v44
	v_mad_i64_i32 v[2:3], s[4:5], v10, s19, v[44:45]
	v_lshlrev_b64 v[2:3], 10, v[2:3]
	v_lshl_or_b32 v1, v46, 1, v2
	s_waitcnt lgkmcnt(0)
	v_mov_b32_e32 v2, s3
	v_add_co_u32_e64 v12, s[2:3], s2, v1
	v_addc_co_u32_e64 v13, s[2:3], v2, v3, s[2:3]
.LBB8_7:
	s_or_b64 exec, exec, s[26:27]
	global_load_dwordx4 v[6:9], v[12:13], off
	global_load_dwordx4 v[2:5], v[12:13], off offset:16
	s_or_b64 exec, exec, s[24:25]
	s_and_saveexec_b64 s[2:3], s[22:23]
	s_xor_b64 s[4:5], exec, s[2:3]
	s_cbranch_execnz .LBB8_12
.LBB8_8:
	s_andn2_saveexec_b64 s[0:1], s[4:5]
	s_cbranch_execz .LBB8_10
.LBB8_9:
	v_lshlrev_b64 v[0:1], 16, v[10:11]
	v_ashrrev_i32_e32 v45, 31, v44
	s_waitcnt vmcnt(0) lgkmcnt(0)
	v_mov_b32_e32 v2, s7
	v_add_co_u32_e32 v3, vcc, s6, v0
	v_addc_co_u32_e32 v2, vcc, v2, v1, vcc
	v_lshlrev_b64 v[0:1], 10, v[44:45]
	v_add_co_u32_e32 v0, vcc, v3, v0
	v_addc_co_u32_e32 v1, vcc, v2, v1, vcc
	v_lshlrev_b32_e32 v2, 1, v46
	s_mov_b32 s0, 0
	v_add_co_u32_e32 v4, vcc, v0, v2
	s_mov_b32 s1, s0
	v_addc_co_u32_e32 v5, vcc, 0, v1, vcc
	s_mov_b32 s2, s0
	s_mov_b32 s3, s0
	v_pk_mov_b32 v[0:1], s[0:1], s[0:1] op_sel:[0,1]
	v_pk_mov_b32 v[2:3], s[2:3], s[2:3] op_sel:[0,1]
	global_store_dwordx4 v[4:5], v[0:3], off
	global_store_dwordx4 v[4:5], v[0:3], off offset:16
.LBB8_10:
	s_endpgm
.LBB8_11:
	s_or_b64 exec, exec, s[24:25]
	s_and_saveexec_b64 s[2:3], s[22:23]
	s_xor_b64 s[4:5], exec, s[2:3]
	s_cbranch_execz .LBB8_8
.LBB8_12:
	s_waitcnt vmcnt(1)
	v_and_b32_e32 v13, 0xffff0000, v6
	v_lshlrev_b32_e32 v12, 16, v6
	v_and_b32_e32 v15, 0xffff0000, v7
	v_lshlrev_b32_e32 v14, 16, v7
	;; [unrolled: 2-line block ×4, first 2 shown]
	s_waitcnt vmcnt(0)
	v_and_b32_e32 v21, 0xffff0000, v2
	v_lshlrev_b32_e32 v20, 16, v2
	v_and_b32_e32 v23, 0xffff0000, v3
	v_lshlrev_b32_e32 v22, 16, v3
	;; [unrolled: 2-line block ×4, first 2 shown]
	s_and_saveexec_b64 s[2:3], s[0:1]
	s_cbranch_execz .LBB8_14
; %bb.13:
	v_pk_mul_f32 v[2:3], v[12:13], v[12:13]
	v_pk_mul_f32 v[4:5], v[14:15], v[14:15]
	v_add_f32_e32 v1, v2, v3
	v_add_f32_e32 v1, v4, v1
	v_pk_mul_f32 v[6:7], v[16:17], v[16:17]
	v_add_f32_e32 v1, v5, v1
	v_add_f32_e32 v1, v6, v1
	;; [unrolled: 3-line block ×4, first 2 shown]
	v_pk_mul_f32 v[30:31], v[22:23], v[22:23]
	v_add_f32_e32 v1, v29, v1
	v_mbcnt_lo_u32_b32 v2, -1, 0
	v_add_f32_e32 v1, v30, v1
	v_mbcnt_hi_u32_b32 v2, -1, v2
	v_pk_mul_f32 v[32:33], v[24:25], v[24:25]
	v_add_f32_e32 v1, v31, v1
	v_and_b32_e32 v3, 0x60, v2
	v_add_f32_e32 v1, v32, v1
	v_add_u32_e32 v3, 32, v3
	v_xor_b32_e32 v4, 16, v2
	v_pk_mul_f32 v[34:35], v[26:27], v[26:27]
	v_add_f32_e32 v1, v33, v1
	v_cmp_lt_i32_e64 s[0:1], v4, v3
	v_add_f32_e32 v1, v34, v1
	v_cndmask_b32_e64 v4, v2, v4, s[0:1]
	v_add_f32_e32 v1, v35, v1
	v_lshlrev_b32_e32 v4, 2, v4
	ds_bpermute_b32 v4, v4, v1
	s_waitcnt lgkmcnt(0)
	v_add_f32_e32 v1, v1, v4
	v_xor_b32_e32 v4, 8, v2
	v_cmp_lt_i32_e64 s[0:1], v4, v3
	v_cndmask_b32_e64 v4, v2, v4, s[0:1]
	v_lshlrev_b32_e32 v4, 2, v4
	ds_bpermute_b32 v4, v4, v1
	s_waitcnt lgkmcnt(0)
	v_add_f32_e32 v1, v1, v4
	v_xor_b32_e32 v4, 4, v2
	v_cmp_lt_i32_e64 s[0:1], v4, v3
	v_cndmask_b32_e64 v4, v2, v4, s[0:1]
	;; [unrolled: 7-line block ×4, first 2 shown]
	v_lshlrev_b32_e32 v2, 2, v2
	ds_bpermute_b32 v2, v2, v1
	s_mov_b32 s0, 0x800000
	s_waitcnt lgkmcnt(0)
	v_add_f32_e32 v1, v1, v2
	v_mov_b32_e32 v2, s16
	v_fmac_f32_e32 v2, 0x3b000000, v1
	v_mul_f32_e32 v1, 0x4b800000, v2
	v_cmp_gt_f32_e64 s[0:1], s0, v2
	v_cndmask_b32_e64 v1, v2, v1, s[0:1]
	v_rsq_f32_e32 v1, v1
	v_mul_f32_e32 v2, 0x45800000, v1
	v_cndmask_b32_e64 v2, v1, v2, s[0:1]
	v_pk_mul_f32 v[26:27], v[2:3], v[26:27] op_sel_hi:[0,1]
	v_pk_mul_f32 v[24:25], v[2:3], v[24:25] op_sel_hi:[0,1]
	;; [unrolled: 1-line block ×8, first 2 shown]
.LBB8_14:
	s_or_b64 exec, exec, s[2:3]
	v_cmp_gt_u32_e64 s[0:1], 28, v47
	v_cmp_lt_u32_e64 s[2:3], 27, v47
	s_and_saveexec_b64 s[16:17], s[2:3]
	s_cbranch_execz .LBB8_18
; %bb.15:
	v_lshlrev_b64 v[2:3], 3, v[10:11]
	s_waitcnt lgkmcnt(0)
	v_mov_b32_e32 v1, s13
	v_add_co_u32_e64 v2, s[2:3], s12, v2
	v_addc_co_u32_e64 v3, s[2:3], v1, v3, s[2:3]
	global_load_dwordx2 v[2:3], v[2:3], off
	v_add_u32_e32 v4, 0xfffffe40, v46
	v_mov_b32_e32 v1, s15
	v_mov_b32_e32 v5, 0
	v_lshrrev_b32_e32 v4, 1, v4
	v_lshlrev_b64 v[4:5], 2, v[4:5]
	s_waitcnt vmcnt(0)
	v_lshlrev_b64 v[2:3], 8, v[2:3]
	v_add_co_u32_e64 v2, s[2:3], s14, v2
	v_addc_co_u32_e64 v1, s[2:3], v1, v3, s[2:3]
	v_add_co_u32_e64 v28, s[2:3], v2, v4
	v_addc_co_u32_e64 v29, s[2:3], v1, v5, s[2:3]
	global_load_dwordx4 v[2:5], v[28:29], off offset:128
	global_load_dwordx4 v[6:9], v[28:29], off offset:144
	global_load_dwordx4 v[48:51], v[28:29], off
	global_load_dwordx4 v[52:55], v[28:29], off offset:16
	s_waitcnt vmcnt(3)
	v_mul_f32_e32 v1, v13, v2
	v_mul_f32_e32 v29, v12, v2
	;; [unrolled: 1-line block ×8, first 2 shown]
	s_waitcnt vmcnt(2)
	v_mul_f32_e32 v5, v21, v6
	v_mul_f32_e32 v37, v20, v6
	;; [unrolled: 1-line block ×8, first 2 shown]
	s_waitcnt vmcnt(1)
	v_fma_f32 v28, v12, v48, -v1
	v_fmac_f32_e32 v29, v13, v48
	v_fma_f32 v30, v14, v49, -v2
	v_fmac_f32_e32 v31, v15, v49
	;; [unrolled: 2-line block ×4, first 2 shown]
	s_waitcnt vmcnt(0)
	v_fma_f32 v36, v20, v52, -v5
	v_fmac_f32_e32 v37, v21, v52
	v_fma_f32 v38, v22, v53, -v6
	v_fmac_f32_e32 v39, v23, v53
	;; [unrolled: 2-line block ×4, first 2 shown]
	v_pk_mov_b32 v[12:13], v[28:29], v[28:29] op_sel:[0,1]
	v_pk_mov_b32 v[14:15], v[30:31], v[30:31] op_sel:[0,1]
	;; [unrolled: 1-line block ×8, first 2 shown]
	s_or_b64 exec, exec, s[16:17]
	s_and_saveexec_b64 s[2:3], vcc
	s_xor_b64 s[12:13], exec, s[2:3]
	s_cbranch_execnz .LBB8_19
.LBB8_16:
	s_andn2_saveexec_b64 s[0:1], s[12:13]
	s_cbranch_execnz .LBB8_353
.LBB8_17:
	s_or_b64 exec, exec, s[0:1]
                                        ; implicit-def: $vgpr10
                                        ; implicit-def: $vgpr44
                                        ; implicit-def: $vgpr46
	s_andn2_saveexec_b64 s[0:1], s[4:5]
	s_cbranch_execnz .LBB8_9
	s_branch .LBB8_10
.LBB8_18:
	s_or_b64 exec, exec, s[16:17]
	s_and_saveexec_b64 s[2:3], vcc
	s_waitcnt lgkmcnt(0)
	s_xor_b64 s[12:13], exec, s[2:3]
	s_cbranch_execz .LBB8_16
.LBB8_19:
	v_lshlrev_b64 v[2:3], 3, v[10:11]
	v_mov_b32_e32 v1, s11
	v_add_co_u32_e32 v2, vcc, s10, v2
	v_addc_co_u32_e32 v3, vcc, v1, v3, vcc
	global_load_dwordx2 v[30:31], v[2:3], off
	s_waitcnt vmcnt(0)
	v_cmp_lt_i64_e32 vcc, -1, v[30:31]
	s_and_saveexec_b64 s[10:11], vcc
                                        ; implicit-def: $vgpr11
	s_cbranch_execz .LBB8_352
; %bb.20:
	s_ashr_i32 s22, s20, 31
	v_or_b32_e32 v3, s22, v31
	v_mov_b32_e32 v2, 0
	v_cmp_ne_u64_e32 vcc, 0, v[2:3]
                                        ; implicit-def: $vgpr32_vgpr33
	s_and_saveexec_b64 s[2:3], vcc
	s_xor_b64 s[14:15], exec, s[2:3]
	s_cbranch_execz .LBB8_22
; %bb.21:
	s_add_u32 s2, s20, s22
	s_mov_b32 s16, s22
	s_mov_b32 s17, s22
	s_addc_u32 s3, s22, s22
	s_xor_b64 s[18:19], s[2:3], s[16:17]
	v_cvt_f32_u32_e32 v1, s18
	v_cvt_f32_u32_e32 v2, s19
	s_sub_u32 s2, 0, s18
	s_subb_u32 s3, 0, s19
	v_madmk_f32 v1, v2, 0x4f800000, v1
	v_rcp_f32_e32 v1, v1
	v_mul_f32_e32 v1, 0x5f7ffffc, v1
	v_mul_f32_e32 v2, 0x2f800000, v1
	v_trunc_f32_e32 v2, v2
	v_madmk_f32 v1, v2, 0xcf800000, v1
	v_cvt_u32_f32_e32 v2, v2
	v_cvt_u32_f32_e32 v1, v1
	v_mul_lo_u32 v3, s2, v2
	v_mul_hi_u32 v5, s2, v1
	v_mul_lo_u32 v4, s3, v1
	v_add_u32_e32 v3, v5, v3
	v_mul_lo_u32 v6, s2, v1
	v_add_u32_e32 v3, v3, v4
	v_mul_lo_u32 v5, v1, v3
	v_mul_hi_u32 v7, v1, v6
	v_mul_hi_u32 v4, v1, v3
	v_add_co_u32_e32 v5, vcc, v7, v5
	v_addc_co_u32_e32 v4, vcc, 0, v4, vcc
	v_mul_hi_u32 v8, v2, v6
	v_mul_lo_u32 v6, v2, v6
	v_add_co_u32_e32 v5, vcc, v5, v6
	v_mul_hi_u32 v7, v2, v3
	v_addc_co_u32_e32 v4, vcc, v4, v8, vcc
	v_addc_co_u32_e32 v5, vcc, 0, v7, vcc
	v_mul_lo_u32 v3, v2, v3
	v_add_co_u32_e32 v3, vcc, v4, v3
	v_addc_co_u32_e32 v4, vcc, 0, v5, vcc
	v_add_co_u32_e32 v1, vcc, v1, v3
	v_addc_co_u32_e32 v2, vcc, v2, v4, vcc
	v_mul_lo_u32 v3, s2, v2
	v_mul_hi_u32 v4, s2, v1
	v_add_u32_e32 v3, v4, v3
	v_mul_lo_u32 v4, s3, v1
	v_add_u32_e32 v3, v3, v4
	v_mul_lo_u32 v5, s2, v1
	v_mul_hi_u32 v6, v2, v5
	v_mul_lo_u32 v7, v2, v5
	v_mul_lo_u32 v9, v1, v3
	v_mul_hi_u32 v5, v1, v5
	v_mul_hi_u32 v8, v1, v3
	v_add_co_u32_e32 v5, vcc, v5, v9
	v_addc_co_u32_e32 v8, vcc, 0, v8, vcc
	v_add_co_u32_e32 v5, vcc, v5, v7
	v_mul_hi_u32 v4, v2, v3
	v_addc_co_u32_e32 v5, vcc, v8, v6, vcc
	v_addc_co_u32_e32 v4, vcc, 0, v4, vcc
	v_mul_lo_u32 v3, v2, v3
	v_add_co_u32_e32 v3, vcc, v5, v3
	v_addc_co_u32_e32 v4, vcc, 0, v4, vcc
	v_add_co_u32_e32 v1, vcc, v1, v3
	v_addc_co_u32_e32 v4, vcc, v2, v4, vcc
	v_ashrrev_i32_e32 v6, 31, v31
	v_add_co_u32_e32 v2, vcc, v30, v6
	v_addc_co_u32_e32 v3, vcc, v31, v6, vcc
	v_xor_b32_e32 v8, v2, v6
	v_xor_b32_e32 v7, v3, v6
	v_mad_u64_u32 v[2:3], s[2:3], v8, v4, 0
	v_mul_hi_u32 v5, v8, v1
	v_add_co_u32_e32 v9, vcc, v5, v2
	v_addc_co_u32_e32 v10, vcc, 0, v3, vcc
	v_mad_u64_u32 v[2:3], s[2:3], v7, v4, 0
	v_mad_u64_u32 v[4:5], s[2:3], v7, v1, 0
	v_add_co_u32_e32 v1, vcc, v9, v4
	v_addc_co_u32_e32 v1, vcc, v10, v5, vcc
	v_addc_co_u32_e32 v3, vcc, 0, v3, vcc
	v_add_co_u32_e32 v1, vcc, v1, v2
	v_addc_co_u32_e32 v4, vcc, 0, v3, vcc
	v_mul_lo_u32 v5, s19, v1
	v_mul_lo_u32 v9, s18, v4
	v_mad_u64_u32 v[2:3], s[2:3], s18, v1, 0
	v_add3_u32 v3, v3, v9, v5
	v_sub_u32_e32 v5, v7, v3
	v_mov_b32_e32 v9, s19
	v_sub_co_u32_e32 v2, vcc, v8, v2
	v_subb_co_u32_e64 v5, s[2:3], v5, v9, vcc
	v_subrev_co_u32_e64 v8, s[2:3], s18, v2
	v_subbrev_co_u32_e64 v5, s[2:3], 0, v5, s[2:3]
	v_cmp_le_u32_e64 s[2:3], s19, v5
	v_cndmask_b32_e64 v9, 0, -1, s[2:3]
	v_cmp_le_u32_e64 s[2:3], s18, v8
	v_cndmask_b32_e64 v8, 0, -1, s[2:3]
	v_cmp_eq_u32_e64 s[2:3], s19, v5
	v_cndmask_b32_e64 v5, v9, v8, s[2:3]
	v_add_co_u32_e64 v8, s[2:3], 2, v1
	v_subb_co_u32_e32 v3, vcc, v7, v3, vcc
	v_addc_co_u32_e64 v9, s[2:3], 0, v4, s[2:3]
	v_cmp_le_u32_e32 vcc, s19, v3
	v_add_co_u32_e64 v10, s[2:3], 1, v1
	v_cndmask_b32_e64 v7, 0, -1, vcc
	v_cmp_le_u32_e32 vcc, s18, v2
	v_addc_co_u32_e64 v11, s[2:3], 0, v4, s[2:3]
	v_cndmask_b32_e64 v2, 0, -1, vcc
	v_cmp_eq_u32_e32 vcc, s19, v3
	v_cmp_ne_u32_e64 s[2:3], 0, v5
	v_cndmask_b32_e32 v2, v7, v2, vcc
	v_cndmask_b32_e64 v5, v11, v9, s[2:3]
	v_cmp_ne_u32_e32 vcc, 0, v2
	v_cndmask_b32_e64 v3, v10, v8, s[2:3]
	v_cndmask_b32_e32 v2, v4, v5, vcc
	v_cndmask_b32_e32 v1, v1, v3, vcc
	v_xor_b32_e32 v4, s16, v6
	v_xor_b32_e32 v3, s17, v6
	;; [unrolled: 1-line block ×4, first 2 shown]
	v_sub_co_u32_e32 v32, vcc, v1, v4
	v_subb_co_u32_e32 v33, vcc, v2, v3, vcc
.LBB8_22:
	s_andn2_saveexec_b64 s[2:3], s[14:15]
	s_cbranch_execz .LBB8_24
; %bb.23:
	v_cvt_f32_u32_e32 v1, s20
	s_sub_i32 s14, 0, s20
	v_mov_b32_e32 v33, 0
	v_rcp_iflag_f32_e32 v1, v1
	v_mul_f32_e32 v1, 0x4f7ffffe, v1
	v_cvt_u32_f32_e32 v1, v1
	v_mul_lo_u32 v2, s14, v1
	v_mul_hi_u32 v2, v1, v2
	v_add_u32_e32 v1, v1, v2
	v_mul_hi_u32 v1, v30, v1
	v_mul_lo_u32 v2, v1, s20
	v_sub_u32_e32 v2, v30, v2
	v_add_u32_e32 v3, 1, v1
	v_subrev_u32_e32 v4, s20, v2
	v_cmp_le_u32_e32 vcc, s20, v2
	v_cndmask_b32_e32 v2, v2, v4, vcc
	v_cndmask_b32_e32 v1, v1, v3, vcc
	v_add_u32_e32 v3, 1, v1
	v_cmp_le_u32_e32 vcc, s20, v2
	v_cndmask_b32_e32 v32, v1, v3, vcc
.LBB8_24:
	s_or_b64 exec, exec, s[2:3]
	s_mov_b32 s2, 0x7f800000
	v_and_b32_e32 v1, 0x7f800000, v12
	v_cmp_ne_u32_e32 vcc, s2, v1
                                        ; implicit-def: $vgpr29
	s_and_saveexec_b64 s[2:3], vcc
	s_xor_b64 s[2:3], exec, s[2:3]
; %bb.25:
	v_bfe_u32 v1, v12, 16, 1
	s_movk_i32 s14, 0x7fff
	v_add3_u32 v29, v12, v1, s14
; %bb.26:
	s_andn2_saveexec_b64 s[2:3], s[2:3]
; %bb.27:
	v_mov_b32_e32 v1, 0
	v_or_b32_e32 v2, 0x10000, v12
	v_cmp_eq_u32_sdwa vcc, v12, v1 src0_sel:WORD_0 src1_sel:DWORD
	v_cndmask_b32_e32 v29, v2, v12, vcc
; %bb.28:
	s_or_b64 exec, exec, s[2:3]
	s_mov_b32 s2, 0x7f800000
	v_and_b32_e32 v1, 0x7f800000, v13
	v_and_b32_e32 v28, 0xffff0000, v29
	v_cmp_ne_u32_e32 vcc, s2, v1
                                        ; implicit-def: $vgpr34
	s_and_saveexec_b64 s[2:3], vcc
	s_xor_b64 s[2:3], exec, s[2:3]
; %bb.29:
	v_bfe_u32 v1, v13, 16, 1
	s_movk_i32 s14, 0x7fff
	v_add3_u32 v34, v13, v1, s14
; %bb.30:
	s_andn2_saveexec_b64 s[2:3], s[2:3]
; %bb.31:
	v_mov_b32_e32 v1, 0
	v_or_b32_e32 v2, 0x10000, v13
	v_cmp_eq_u32_sdwa vcc, v13, v1 src0_sel:WORD_0 src1_sel:DWORD
	v_cndmask_b32_e32 v34, v2, v13, vcc
; %bb.32:
	s_or_b64 exec, exec, s[2:3]
	s_mov_b32 s2, 0x7f800000
	v_and_b32_e32 v2, 0x7f800000, v14
	v_and_b32_e32 v1, 0xffff0000, v34
	v_cmp_ne_u32_e32 vcc, s2, v2
                                        ; implicit-def: $vgpr35
	s_and_saveexec_b64 s[2:3], vcc
	s_xor_b64 s[2:3], exec, s[2:3]
; %bb.33:
	v_bfe_u32 v2, v14, 16, 1
	s_movk_i32 s14, 0x7fff
	v_add3_u32 v35, v14, v2, s14
; %bb.34:
	s_andn2_saveexec_b64 s[2:3], s[2:3]
; %bb.35:
	v_mov_b32_e32 v2, 0
	v_or_b32_e32 v3, 0x10000, v14
	v_cmp_eq_u32_sdwa vcc, v14, v2 src0_sel:WORD_0 src1_sel:DWORD
	v_cndmask_b32_e32 v35, v3, v14, vcc
; %bb.36:
	s_or_b64 exec, exec, s[2:3]
	s_mov_b32 s2, 0x7f800000
	v_and_b32_e32 v3, 0x7f800000, v15
	v_and_b32_e32 v2, 0xffff0000, v35
	v_cmp_ne_u32_e32 vcc, s2, v3
                                        ; implicit-def: $vgpr36
	s_and_saveexec_b64 s[2:3], vcc
	s_xor_b64 s[2:3], exec, s[2:3]
; %bb.37:
	v_bfe_u32 v3, v15, 16, 1
	s_movk_i32 s14, 0x7fff
	v_add3_u32 v36, v15, v3, s14
; %bb.38:
	s_andn2_saveexec_b64 s[2:3], s[2:3]
; %bb.39:
	v_mov_b32_e32 v3, 0
	v_or_b32_e32 v4, 0x10000, v15
	v_cmp_eq_u32_sdwa vcc, v15, v3 src0_sel:WORD_0 src1_sel:DWORD
	v_cndmask_b32_e32 v36, v4, v15, vcc
; %bb.40:
	s_or_b64 exec, exec, s[2:3]
	s_mov_b32 s2, 0x7f800000
	v_and_b32_e32 v4, 0x7f800000, v16
	v_and_b32_e32 v3, 0xffff0000, v36
	v_cmp_ne_u32_e32 vcc, s2, v4
                                        ; implicit-def: $vgpr37
	s_and_saveexec_b64 s[2:3], vcc
	s_xor_b64 s[2:3], exec, s[2:3]
; %bb.41:
	v_bfe_u32 v4, v16, 16, 1
	s_movk_i32 s14, 0x7fff
	v_add3_u32 v37, v16, v4, s14
; %bb.42:
	s_andn2_saveexec_b64 s[2:3], s[2:3]
; %bb.43:
	v_mov_b32_e32 v4, 0
	v_or_b32_e32 v5, 0x10000, v16
	v_cmp_eq_u32_sdwa vcc, v16, v4 src0_sel:WORD_0 src1_sel:DWORD
	v_cndmask_b32_e32 v37, v5, v16, vcc
; %bb.44:
	s_or_b64 exec, exec, s[2:3]
	s_mov_b32 s2, 0x7f800000
	v_and_b32_e32 v5, 0x7f800000, v17
	v_and_b32_e32 v4, 0xffff0000, v37
	v_cmp_ne_u32_e32 vcc, s2, v5
                                        ; implicit-def: $vgpr38
	s_and_saveexec_b64 s[2:3], vcc
	s_xor_b64 s[2:3], exec, s[2:3]
; %bb.45:
	v_bfe_u32 v5, v17, 16, 1
	s_movk_i32 s14, 0x7fff
	v_add3_u32 v38, v17, v5, s14
; %bb.46:
	s_andn2_saveexec_b64 s[2:3], s[2:3]
; %bb.47:
	v_mov_b32_e32 v5, 0
	v_or_b32_e32 v6, 0x10000, v17
	v_cmp_eq_u32_sdwa vcc, v17, v5 src0_sel:WORD_0 src1_sel:DWORD
	v_cndmask_b32_e32 v38, v6, v17, vcc
; %bb.48:
	s_or_b64 exec, exec, s[2:3]
	s_mov_b32 s2, 0x7f800000
	v_and_b32_e32 v6, 0x7f800000, v18
	v_and_b32_e32 v5, 0xffff0000, v38
	v_cmp_ne_u32_e32 vcc, s2, v6
                                        ; implicit-def: $vgpr39
	s_and_saveexec_b64 s[2:3], vcc
	s_xor_b64 s[2:3], exec, s[2:3]
; %bb.49:
	v_bfe_u32 v6, v18, 16, 1
	s_movk_i32 s14, 0x7fff
	v_add3_u32 v39, v18, v6, s14
; %bb.50:
	s_andn2_saveexec_b64 s[2:3], s[2:3]
; %bb.51:
	v_mov_b32_e32 v6, 0
	v_or_b32_e32 v7, 0x10000, v18
	v_cmp_eq_u32_sdwa vcc, v18, v6 src0_sel:WORD_0 src1_sel:DWORD
	v_cndmask_b32_e32 v39, v7, v18, vcc
; %bb.52:
	s_or_b64 exec, exec, s[2:3]
	s_mov_b32 s2, 0x7f800000
	v_and_b32_e32 v7, 0x7f800000, v19
	v_and_b32_e32 v6, 0xffff0000, v39
	v_cmp_ne_u32_e32 vcc, s2, v7
                                        ; implicit-def: $vgpr40
	s_and_saveexec_b64 s[2:3], vcc
	s_xor_b64 s[2:3], exec, s[2:3]
; %bb.53:
	v_bfe_u32 v7, v19, 16, 1
	s_movk_i32 s14, 0x7fff
	v_add3_u32 v40, v19, v7, s14
; %bb.54:
	s_andn2_saveexec_b64 s[2:3], s[2:3]
; %bb.55:
	v_mov_b32_e32 v7, 0
	v_or_b32_e32 v8, 0x10000, v19
	v_cmp_eq_u32_sdwa vcc, v19, v7 src0_sel:WORD_0 src1_sel:DWORD
	v_cndmask_b32_e32 v40, v8, v19, vcc
; %bb.56:
	s_or_b64 exec, exec, s[2:3]
	s_mov_b32 s2, 0x7f800000
	v_and_b32_e32 v8, 0x7f800000, v20
	v_and_b32_e32 v7, 0xffff0000, v40
	v_cmp_ne_u32_e32 vcc, s2, v8
                                        ; implicit-def: $vgpr41
	s_and_saveexec_b64 s[2:3], vcc
	s_xor_b64 s[2:3], exec, s[2:3]
; %bb.57:
	v_bfe_u32 v8, v20, 16, 1
	s_movk_i32 s14, 0x7fff
	v_add3_u32 v41, v20, v8, s14
; %bb.58:
	s_andn2_saveexec_b64 s[2:3], s[2:3]
; %bb.59:
	v_mov_b32_e32 v8, 0
	v_or_b32_e32 v9, 0x10000, v20
	v_cmp_eq_u32_sdwa vcc, v20, v8 src0_sel:WORD_0 src1_sel:DWORD
	v_cndmask_b32_e32 v41, v9, v20, vcc
; %bb.60:
	s_or_b64 exec, exec, s[2:3]
	s_mov_b32 s2, 0x7f800000
	v_and_b32_e32 v9, 0x7f800000, v21
	v_and_b32_e32 v8, 0xffff0000, v41
	v_cmp_ne_u32_e32 vcc, s2, v9
                                        ; implicit-def: $vgpr42
	s_and_saveexec_b64 s[2:3], vcc
	s_xor_b64 s[2:3], exec, s[2:3]
; %bb.61:
	v_bfe_u32 v9, v21, 16, 1
	s_movk_i32 s14, 0x7fff
	v_add3_u32 v42, v21, v9, s14
; %bb.62:
	s_andn2_saveexec_b64 s[2:3], s[2:3]
; %bb.63:
	v_mov_b32_e32 v9, 0
	v_or_b32_e32 v10, 0x10000, v21
	v_cmp_eq_u32_sdwa vcc, v21, v9 src0_sel:WORD_0 src1_sel:DWORD
	v_cndmask_b32_e32 v42, v10, v21, vcc
; %bb.64:
	s_or_b64 exec, exec, s[2:3]
	s_mov_b32 s2, 0x7f800000
	v_and_b32_e32 v10, 0x7f800000, v22
	v_and_b32_e32 v9, 0xffff0000, v42
	v_cmp_ne_u32_e32 vcc, s2, v10
                                        ; implicit-def: $vgpr43
	s_and_saveexec_b64 s[2:3], vcc
	s_xor_b64 s[2:3], exec, s[2:3]
; %bb.65:
	v_bfe_u32 v10, v22, 16, 1
	s_movk_i32 s14, 0x7fff
	v_add3_u32 v43, v22, v10, s14
; %bb.66:
	s_andn2_saveexec_b64 s[2:3], s[2:3]
; %bb.67:
	v_mov_b32_e32 v10, 0
	v_or_b32_e32 v11, 0x10000, v22
	v_cmp_eq_u32_sdwa vcc, v22, v10 src0_sel:WORD_0 src1_sel:DWORD
	v_cndmask_b32_e32 v43, v11, v22, vcc
; %bb.68:
	s_or_b64 exec, exec, s[2:3]
	s_mov_b32 s2, 0x7f800000
	v_and_b32_e32 v11, 0x7f800000, v23
	v_and_b32_e32 v10, 0xffff0000, v43
	v_cmp_ne_u32_e32 vcc, s2, v11
                                        ; implicit-def: $vgpr44
	s_and_saveexec_b64 s[2:3], vcc
	s_xor_b64 s[2:3], exec, s[2:3]
; %bb.69:
	v_bfe_u32 v11, v23, 16, 1
	s_movk_i32 s14, 0x7fff
	v_add3_u32 v44, v23, v11, s14
; %bb.70:
	s_andn2_saveexec_b64 s[2:3], s[2:3]
; %bb.71:
	v_mov_b32_e32 v11, 0
	v_or_b32_e32 v12, 0x10000, v23
	v_cmp_eq_u32_sdwa vcc, v23, v11 src0_sel:WORD_0 src1_sel:DWORD
	v_cndmask_b32_e32 v44, v12, v23, vcc
; %bb.72:
	s_or_b64 exec, exec, s[2:3]
	s_mov_b32 s2, 0x7f800000
	v_and_b32_e32 v12, 0x7f800000, v24
	v_and_b32_e32 v11, 0xffff0000, v44
	v_cmp_ne_u32_e32 vcc, s2, v12
                                        ; implicit-def: $vgpr45
	s_and_saveexec_b64 s[2:3], vcc
	s_xor_b64 s[2:3], exec, s[2:3]
; %bb.73:
	v_bfe_u32 v12, v24, 16, 1
	s_movk_i32 s14, 0x7fff
	v_add3_u32 v45, v24, v12, s14
; %bb.74:
	s_andn2_saveexec_b64 s[2:3], s[2:3]
; %bb.75:
	v_mov_b32_e32 v12, 0
	v_or_b32_e32 v13, 0x10000, v24
	v_cmp_eq_u32_sdwa vcc, v24, v12 src0_sel:WORD_0 src1_sel:DWORD
	v_cndmask_b32_e32 v45, v13, v24, vcc
; %bb.76:
	s_or_b64 exec, exec, s[2:3]
	s_mov_b32 s2, 0x7f800000
	v_and_b32_e32 v12, 0x7f800000, v25
	v_cmp_ne_u32_e32 vcc, s2, v12
                                        ; implicit-def: $vgpr48
	s_and_saveexec_b64 s[2:3], vcc
	s_xor_b64 s[2:3], exec, s[2:3]
; %bb.77:
	v_bfe_u32 v12, v25, 16, 1
	s_movk_i32 s14, 0x7fff
	v_add3_u32 v48, v25, v12, s14
; %bb.78:
	s_andn2_saveexec_b64 s[2:3], s[2:3]
; %bb.79:
	v_mov_b32_e32 v12, 0
	v_or_b32_e32 v13, 0x10000, v25
	v_cmp_eq_u32_sdwa vcc, v25, v12 src0_sel:WORD_0 src1_sel:DWORD
	v_cndmask_b32_e32 v48, v13, v25, vcc
; %bb.80:
	s_or_b64 exec, exec, s[2:3]
	s_mov_b32 s2, 0x7f800000
	v_and_b32_e32 v12, 0x7f800000, v26
	v_cmp_ne_u32_e32 vcc, s2, v12
                                        ; implicit-def: $vgpr49
	s_and_saveexec_b64 s[2:3], vcc
	s_xor_b64 s[2:3], exec, s[2:3]
; %bb.81:
	v_bfe_u32 v12, v26, 16, 1
	s_movk_i32 s14, 0x7fff
	v_add3_u32 v49, v26, v12, s14
; %bb.82:
	s_andn2_saveexec_b64 s[2:3], s[2:3]
; %bb.83:
	v_mov_b32_e32 v12, 0
	v_or_b32_e32 v13, 0x10000, v26
	v_cmp_eq_u32_sdwa vcc, v26, v12 src0_sel:WORD_0 src1_sel:DWORD
	v_cndmask_b32_e32 v49, v13, v26, vcc
; %bb.84:
	s_or_b64 exec, exec, s[2:3]
	s_mov_b32 s2, 0x7f800000
	v_and_b32_e32 v12, 0x7f800000, v27
	v_cmp_ne_u32_e32 vcc, s2, v12
                                        ; implicit-def: $vgpr50
	s_and_saveexec_b64 s[2:3], vcc
	s_xor_b64 s[2:3], exec, s[2:3]
; %bb.85:
	v_bfe_u32 v12, v27, 16, 1
	s_movk_i32 s14, 0x7fff
	v_add3_u32 v50, v27, v12, s14
                                        ; implicit-def: $vgpr12_vgpr13_vgpr14_vgpr15_vgpr16_vgpr17_vgpr18_vgpr19_vgpr20_vgpr21_vgpr22_vgpr23_vgpr24_vgpr25_vgpr26_vgpr27
; %bb.86:
	s_andn2_saveexec_b64 s[2:3], s[2:3]
; %bb.87:
	v_mov_b32_e32 v12, 0
	v_or_b32_e32 v13, 0x10000, v27
	v_cmp_eq_u32_sdwa vcc, v27, v12 src0_sel:WORD_0 src1_sel:DWORD
	v_cndmask_b32_e32 v50, v13, v27, vcc
; %bb.88:
	s_or_b64 exec, exec, s[2:3]
	v_mul_lo_u32 v14, v33, s20
	v_mul_lo_u32 v15, v32, s22
	v_mad_u64_u32 v[12:13], s[2:3], v32, s20, 0
	v_add3_u32 v13, v13, v15, v14
	v_sub_co_u32_e32 v14, vcc, v30, v12
	v_subb_co_u32_e32 v15, vcc, v31, v13, vcc
	s_ashr_i32 s14, s21, 31
	v_pk_mov_b32 v[12:13], s[8:9], s[8:9] op_sel:[0,1]
	v_mad_u64_u32 v[16:17], s[2:3], v32, s21, v[12:13]
	v_mul_lo_u32 v12, v33, s21
	v_mul_lo_u32 v13, v32, s14
	v_add3_u32 v17, v12, v17, v13
	s_movk_i32 s8, 0x240
	v_mad_u64_u32 v[12:13], s[2:3], v14, s8, v[16:17]
	v_mov_b32_e32 v18, v13
	v_mad_u64_u32 v[18:19], s[2:3], v15, s8, v[18:19]
	v_mov_b32_e32 v13, v18
	v_max3_f32 v18, |v28|, 0, |v1|
	v_max3_f32 v18, v18, |v2|, |v3|
	v_mbcnt_lo_u32_b32 v19, -1, 0
	v_max3_f32 v18, v18, |v4|, |v5|
	v_mbcnt_hi_u32_b32 v19, -1, v19
	v_max3_f32 v18, v18, |v6|, |v7|
	v_and_b32_e32 v20, 64, v19
	v_max3_f32 v18, v18, |v8|, |v9|
	v_add_u32_e32 v20, 64, v20
	v_xor_b32_e32 v21, 1, v19
	v_max3_f32 v18, v18, |v10|, |v11|
	v_and_b32_e32 v26, 0xffff0000, v48
	v_and_b32_e32 v27, 0xffff0000, v45
	v_cmp_lt_i32_e32 vcc, v21, v20
	v_max3_f32 v18, v18, |v27|, |v26|
	v_and_b32_e32 v24, 0xffff0000, v49
	v_and_b32_e32 v22, 0xffff0000, v50
	v_cndmask_b32_e32 v21, v19, v21, vcc
	v_max3_f32 v18, v18, |v24|, |v22|
	v_lshlrev_b32_e32 v21, 2, v21
	ds_bpermute_b32 v21, v21, v18
	s_waitcnt lgkmcnt(0)
	v_max_f32_e32 v21, v21, v21
	v_max_f32_e32 v18, v18, v21
	v_xor_b32_e32 v21, 2, v19
	v_cmp_lt_i32_e32 vcc, v21, v20
	v_cndmask_b32_e32 v19, v19, v21, vcc
	v_lshlrev_b32_e32 v19, 2, v19
	ds_bpermute_b32 v19, v19, v18
	s_and_saveexec_b64 s[2:3], s[0:1]
	s_xor_b64 s[2:3], exec, s[2:3]
	s_cbranch_execz .LBB8_350
; %bb.89:
	s_mov_b32 s0, 0x38d1b717
	s_waitcnt lgkmcnt(0)
	v_max3_f32 v18, v18, v19, s0
	s_mov_b32 s8, 0x43e00000
	v_div_scale_f32 v19, s[0:1], s8, s8, v18
	v_rcp_f32_e32 v20, v19
	s_mov_b32 s0, 0x800000
	v_fma_f32 v21, -v19, v20, 1.0
	v_fmac_f32_e32 v20, v21, v20
	v_div_scale_f32 v21, vcc, v18, s8, v18
	v_mul_f32_e32 v23, v21, v20
	v_fma_f32 v25, -v19, v23, v21
	v_fmac_f32_e32 v23, v25, v20
	v_fma_f32 v19, -v19, v23, v21
	v_div_fmas_f32 v19, v19, v20, v23
	v_div_fixup_f32 v18, v19, s8, v18
	v_mov_b32_e32 v19, 0x4f800000
	v_cmp_gt_f32_e32 vcc, s0, v18
	v_cndmask_b32_e32 v19, 1.0, v19, vcc
	v_mul_f32_e32 v18, v18, v19
	v_log_f32_e32 v18, v18
	v_mov_b32_e32 v19, 0x42000000
	v_cndmask_b32_e32 v19, 0, v19, vcc
	s_mov_b32 s0, 0x42fc0000
	v_sub_f32_e32 v18, v18, v19
	v_ceil_f32_e32 v20, v18
	v_mov_b32_e32 v18, 0x42800000
	v_cmp_lt_f32_e32 vcc, s0, v20
	v_cndmask_b32_e32 v18, 0, v18, vcc
	v_sub_f32_e32 v18, v18, v20
	v_exp_f32_e32 v18, v18
	v_mov_b32_e32 v19, 0x1f800000
	v_cndmask_b32_e32 v19, 1.0, v19, vcc
	s_movk_i32 s0, 0x80
	v_mul_f32_e32 v23, v18, v19
	v_mul_f32_e32 v18, v23, v28
	v_max_f32_e32 v18, 0xc3e00000, v18
	v_min_f32_e32 v28, 0x43e00000, v18
	v_mov_b32_e32 v19, 0
	v_and_b32_sdwa v25, v28, s0 dst_sel:DWORD dst_unused:UNUSED_PAD src0_sel:BYTE_3 src1_sel:DWORD
	v_and_b32_e32 v30, 0x7f800000, v28
	v_mov_b32_e32 v31, v19
	s_mov_b64 s[0:1], 0x7f800000
	v_and_b32_e32 v18, 0x7fffff, v28
	v_or_b32_e32 v21, 0x7e, v25
	v_cmp_ne_u64_e32 vcc, s[0:1], v[30:31]
	s_and_saveexec_b64 s[0:1], vcc
	s_xor_b64 s[8:9], exec, s[0:1]
	s_cbranch_execz .LBB8_103
; %bb.90:
	v_and_b32_e32 v30, 0x7fffffff, v28
	v_mov_b32_e32 v31, v19
	s_mov_b64 s[0:1], 0x43e00001
	v_cmp_gt_u64_e32 vcc, s[0:1], v[30:31]
	s_and_saveexec_b64 s[0:1], vcc
	s_xor_b64 s[14:15], exec, s[0:1]
	s_cbranch_execz .LBB8_102
; %bb.91:
	v_cmp_ne_u32_e32 vcc, 0, v28
	v_mov_b32_e32 v21, 0
	s_and_saveexec_b64 s[16:17], vcc
	s_cbranch_execz .LBB8_101
; %bb.92:
	v_bfe_u32 v21, v28, 23, 8
	s_movk_i32 s0, 0x7a
	v_sub_u32_e32 v29, 0x79, v21
	v_cmp_gt_u32_e32 vcc, s0, v21
	v_add_u32_e32 v28, 0xffffff81, v21
	v_cndmask_b32_e32 v29, 0, v29, vcc
	v_mov_b32_e32 v31, 0xffffff82
	v_cmp_eq_u32_e32 vcc, 0, v21
	v_cndmask_b32_e32 v21, v28, v31, vcc
	v_mov_b32_e32 v28, 0x78
	v_cndmask_b32_e32 v34, v29, v28, vcc
	v_add_u32_e32 v28, 20, v34
	v_or_b32_e32 v30, 0x800000, v18
	v_lshlrev_b64 v[28:29], v28, -1
	v_cndmask_b32_e32 v18, v30, v18, vcc
	v_not_b32_e32 v28, v28
	v_and_b32_e32 v30, v18, v28
	v_add_u32_e32 v28, 19, v34
	v_lshrrev_b64 v[18:19], v34, v[18:19]
	v_not_b32_e32 v29, v29
	v_lshlrev_b64 v[32:33], v28, 1
	v_lshrrev_b32_e32 v28, 23, v18
	v_and_b32_e32 v31, 0, v29
	v_add3_u32 v29, v34, v21, v28
	v_bfe_u32 v28, v18, 20, 1
	v_add_u32_e32 v28, -1, v28
	v_cmp_eq_u64_e32 vcc, v[30:31], v[32:33]
	v_cndmask_b32_e32 v28, 0, v28, vcc
	v_add_u32_e32 v28, v28, v18
	v_and_b32_e32 v28, 0xfffff, v28
	v_add_co_u32_e32 v18, vcc, v28, v18
	v_add_u32_e32 v21, 6, v29
	v_addc_co_u32_e32 v19, vcc, 0, v19, vcc
	v_cmp_ne_u32_e32 vcc, 0, v21
                                        ; implicit-def: $vgpr28
	s_and_saveexec_b64 s[0:1], vcc
	s_xor_b64 s[0:1], exec, s[0:1]
; %bb.93:
	s_mov_b64 s[18:19], 0xffffff
	v_add_u32_e32 v28, 7, v29
	v_cmp_lt_u64_e32 vcc, s[18:19], v[18:19]
	v_cndmask_b32_e32 v28, v21, v28, vcc
	v_cndmask_b32_e64 v21, 0, 1, vcc
	v_lshrrev_b64 v[18:19], v21, v[18:19]
; %bb.94:
	s_andn2_saveexec_b64 s[0:1], s[0:1]
; %bb.95:
	v_bfe_u32 v28, v18, 23, 1
; %bb.96:
	s_or_b64 exec, exec, s[0:1]
	v_lshrrev_b64 v[18:19], 20, v[18:19]
	v_cmp_gt_i32_e32 vcc, 16, v28
	v_cndmask_b32_e32 v19, 0, v19, vcc
	v_cndmask_b32_e32 v18, 7, v18, vcc
	v_cmp_ne_u32_e32 vcc, 0, v28
	v_cmp_ne_u64_e64 s[0:1], 0, v[18:19]
	s_or_b64 s[0:1], vcc, s[0:1]
                                        ; implicit-def: $vgpr21
	s_and_saveexec_b64 s[18:19], s[0:1]
	s_xor_b64 s[0:1], exec, s[18:19]
; %bb.97:
	v_min_i32_e32 v19, 15, v28
	v_lshl_or_b32 v19, v19, 3, v25
	v_and_or_b32 v21, v18, 7, v19
                                        ; implicit-def: $vgpr25
; %bb.98:
	s_andn2_saveexec_b64 s[0:1], s[0:1]
; %bb.99:
	v_mov_b32_e32 v21, v25
; %bb.100:
	s_or_b64 exec, exec, s[0:1]
.LBB8_101:
	s_or_b64 exec, exec, s[16:17]
.LBB8_102:
	s_andn2_saveexec_b64 s[0:1], s[14:15]
	s_or_b64 exec, exec, s[0:1]
                                        ; implicit-def: $vgpr28
                                        ; implicit-def: $vgpr18_vgpr19
.LBB8_103:
	s_andn2_saveexec_b64 s[0:1], s[8:9]
; %bb.104:
	s_movk_i32 s8, 0x7f
	v_or_b32_sdwa v25, v28, s8 dst_sel:DWORD dst_unused:UNUSED_PAD src0_sel:BYTE_3 src1_sel:DWORD
	v_cmp_eq_u64_e32 vcc, 0, v[18:19]
	v_cndmask_b32_e32 v21, v25, v21, vcc
; %bb.105:
	s_or_b64 exec, exec, s[0:1]
	v_mul_f32_e32 v1, v23, v1
	v_max_f32_e32 v1, 0xc3e00000, v1
	v_min_f32_e32 v28, 0x43e00000, v1
	v_mov_b32_e32 v19, 0
	s_movk_i32 s0, 0x80
	v_and_b32_sdwa v25, v28, s0 dst_sel:DWORD dst_unused:UNUSED_PAD src0_sel:BYTE_3 src1_sel:DWORD
	v_and_b32_e32 v30, 0x7f800000, v28
	v_mov_b32_e32 v31, v19
	s_mov_b64 s[0:1], 0x7f800000
	v_and_b32_e32 v18, 0x7fffff, v28
	v_or_b32_e32 v1, 0x7e, v25
	v_cmp_ne_u64_e32 vcc, s[0:1], v[30:31]
	s_and_saveexec_b64 s[0:1], vcc
	s_xor_b64 s[8:9], exec, s[0:1]
	s_cbranch_execz .LBB8_119
; %bb.106:
	v_and_b32_e32 v30, 0x7fffffff, v28
	v_mov_b32_e32 v31, v19
	s_mov_b64 s[0:1], 0x43e00001
	v_cmp_gt_u64_e32 vcc, s[0:1], v[30:31]
	s_and_saveexec_b64 s[0:1], vcc
	s_xor_b64 s[14:15], exec, s[0:1]
	s_cbranch_execz .LBB8_118
; %bb.107:
	v_cmp_ne_u32_e32 vcc, 0, v28
	v_mov_b32_e32 v1, 0
	s_and_saveexec_b64 s[16:17], vcc
	s_cbranch_execz .LBB8_117
; %bb.108:
	v_bfe_u32 v1, v28, 23, 8
	s_movk_i32 s0, 0x7a
	v_sub_u32_e32 v29, 0x79, v1
	v_cmp_gt_u32_e32 vcc, s0, v1
	v_add_u32_e32 v28, 0xffffff81, v1
	v_cndmask_b32_e32 v29, 0, v29, vcc
	v_mov_b32_e32 v31, 0xffffff82
	v_cmp_eq_u32_e32 vcc, 0, v1
	v_cndmask_b32_e32 v1, v28, v31, vcc
	v_mov_b32_e32 v28, 0x78
	v_cndmask_b32_e32 v34, v29, v28, vcc
	v_add_u32_e32 v28, 20, v34
	v_or_b32_e32 v30, 0x800000, v18
	v_lshlrev_b64 v[28:29], v28, -1
	v_cndmask_b32_e32 v18, v30, v18, vcc
	v_not_b32_e32 v28, v28
	v_and_b32_e32 v30, v18, v28
	v_add_u32_e32 v28, 19, v34
	v_lshrrev_b64 v[18:19], v34, v[18:19]
	v_not_b32_e32 v29, v29
	v_lshlrev_b64 v[32:33], v28, 1
	v_lshrrev_b32_e32 v28, 23, v18
	v_and_b32_e32 v31, 0, v29
	v_add3_u32 v29, v34, v1, v28
	v_bfe_u32 v28, v18, 20, 1
	v_add_u32_e32 v28, -1, v28
	v_cmp_eq_u64_e32 vcc, v[30:31], v[32:33]
	v_cndmask_b32_e32 v28, 0, v28, vcc
	v_add_u32_e32 v28, v28, v18
	v_and_b32_e32 v28, 0xfffff, v28
	v_add_co_u32_e32 v18, vcc, v28, v18
	v_add_u32_e32 v1, 6, v29
	v_addc_co_u32_e32 v19, vcc, 0, v19, vcc
	v_cmp_ne_u32_e32 vcc, 0, v1
                                        ; implicit-def: $vgpr28
	s_and_saveexec_b64 s[0:1], vcc
	s_xor_b64 s[0:1], exec, s[0:1]
; %bb.109:
	s_mov_b64 s[18:19], 0xffffff
	v_add_u32_e32 v28, 7, v29
	v_cmp_lt_u64_e32 vcc, s[18:19], v[18:19]
	v_cndmask_b32_e32 v28, v1, v28, vcc
	v_cndmask_b32_e64 v1, 0, 1, vcc
	v_lshrrev_b64 v[18:19], v1, v[18:19]
; %bb.110:
	s_andn2_saveexec_b64 s[0:1], s[0:1]
; %bb.111:
	v_bfe_u32 v28, v18, 23, 1
; %bb.112:
	s_or_b64 exec, exec, s[0:1]
	v_lshrrev_b64 v[18:19], 20, v[18:19]
	v_cmp_gt_i32_e32 vcc, 16, v28
	v_cndmask_b32_e32 v19, 0, v19, vcc
	v_cndmask_b32_e32 v18, 7, v18, vcc
	v_cmp_ne_u32_e32 vcc, 0, v28
	v_cmp_ne_u64_e64 s[0:1], 0, v[18:19]
	s_or_b64 s[0:1], vcc, s[0:1]
                                        ; implicit-def: $vgpr1
	s_and_saveexec_b64 s[18:19], s[0:1]
	s_xor_b64 s[0:1], exec, s[18:19]
; %bb.113:
	v_min_i32_e32 v1, 15, v28
	v_lshl_or_b32 v1, v1, 3, v25
	v_and_or_b32 v1, v18, 7, v1
                                        ; implicit-def: $vgpr25
; %bb.114:
	s_andn2_saveexec_b64 s[0:1], s[0:1]
; %bb.115:
	v_mov_b32_e32 v1, v25
; %bb.116:
	s_or_b64 exec, exec, s[0:1]
.LBB8_117:
	s_or_b64 exec, exec, s[16:17]
.LBB8_118:
	s_andn2_saveexec_b64 s[0:1], s[14:15]
	s_or_b64 exec, exec, s[0:1]
                                        ; implicit-def: $vgpr28
                                        ; implicit-def: $vgpr18_vgpr19
.LBB8_119:
	s_andn2_saveexec_b64 s[0:1], s[8:9]
; %bb.120:
	s_movk_i32 s8, 0x7f
	v_or_b32_sdwa v25, v28, s8 dst_sel:DWORD dst_unused:UNUSED_PAD src0_sel:BYTE_3 src1_sel:DWORD
	v_cmp_eq_u64_e32 vcc, 0, v[18:19]
	v_cndmask_b32_e32 v1, v25, v1, vcc
; %bb.121:
	s_or_b64 exec, exec, s[0:1]
	v_mul_f32_e32 v2, v23, v2
	v_max_f32_e32 v2, 0xc3e00000, v2
	v_min_f32_e32 v28, 0x43e00000, v2
	v_mov_b32_e32 v19, 0
	s_movk_i32 s0, 0x80
	v_and_b32_sdwa v2, v28, s0 dst_sel:DWORD dst_unused:UNUSED_PAD src0_sel:BYTE_3 src1_sel:DWORD
	v_and_b32_e32 v30, 0x7f800000, v28
	v_mov_b32_e32 v31, v19
	s_mov_b64 s[0:1], 0x7f800000
	v_and_b32_e32 v18, 0x7fffff, v28
	v_or_b32_e32 v25, 0x7e, v2
	v_cmp_ne_u64_e32 vcc, s[0:1], v[30:31]
	s_and_saveexec_b64 s[0:1], vcc
	s_xor_b64 s[8:9], exec, s[0:1]
	s_cbranch_execz .LBB8_135
; %bb.122:
	v_and_b32_e32 v30, 0x7fffffff, v28
	v_mov_b32_e32 v31, v19
	s_mov_b64 s[0:1], 0x43e00001
	v_cmp_gt_u64_e32 vcc, s[0:1], v[30:31]
	s_and_saveexec_b64 s[0:1], vcc
	s_xor_b64 s[14:15], exec, s[0:1]
	s_cbranch_execz .LBB8_134
; %bb.123:
	v_cmp_ne_u32_e32 vcc, 0, v28
	v_mov_b32_e32 v25, 0
	s_and_saveexec_b64 s[16:17], vcc
	s_cbranch_execz .LBB8_133
; %bb.124:
	v_bfe_u32 v25, v28, 23, 8
	s_movk_i32 s0, 0x7a
	v_sub_u32_e32 v29, 0x79, v25
	v_cmp_gt_u32_e32 vcc, s0, v25
	v_add_u32_e32 v28, 0xffffff81, v25
	v_cndmask_b32_e32 v29, 0, v29, vcc
	v_mov_b32_e32 v31, 0xffffff82
	v_cmp_eq_u32_e32 vcc, 0, v25
	v_cndmask_b32_e32 v25, v28, v31, vcc
	v_mov_b32_e32 v28, 0x78
	v_cndmask_b32_e32 v34, v29, v28, vcc
	v_add_u32_e32 v28, 20, v34
	v_or_b32_e32 v30, 0x800000, v18
	v_lshlrev_b64 v[28:29], v28, -1
	v_cndmask_b32_e32 v18, v30, v18, vcc
	v_not_b32_e32 v28, v28
	v_and_b32_e32 v30, v18, v28
	v_add_u32_e32 v28, 19, v34
	v_lshrrev_b64 v[18:19], v34, v[18:19]
	v_not_b32_e32 v29, v29
	v_lshlrev_b64 v[32:33], v28, 1
	v_lshrrev_b32_e32 v28, 23, v18
	v_and_b32_e32 v31, 0, v29
	v_add3_u32 v29, v34, v25, v28
	v_bfe_u32 v28, v18, 20, 1
	v_add_u32_e32 v28, -1, v28
	v_cmp_eq_u64_e32 vcc, v[30:31], v[32:33]
	v_cndmask_b32_e32 v28, 0, v28, vcc
	v_add_u32_e32 v28, v28, v18
	v_and_b32_e32 v28, 0xfffff, v28
	v_add_co_u32_e32 v18, vcc, v28, v18
	v_add_u32_e32 v25, 6, v29
	v_addc_co_u32_e32 v19, vcc, 0, v19, vcc
	v_cmp_ne_u32_e32 vcc, 0, v25
                                        ; implicit-def: $vgpr28
	s_and_saveexec_b64 s[0:1], vcc
	s_xor_b64 s[0:1], exec, s[0:1]
; %bb.125:
	s_mov_b64 s[18:19], 0xffffff
	v_add_u32_e32 v28, 7, v29
	v_cmp_lt_u64_e32 vcc, s[18:19], v[18:19]
	v_cndmask_b32_e32 v28, v25, v28, vcc
	v_cndmask_b32_e64 v25, 0, 1, vcc
	v_lshrrev_b64 v[18:19], v25, v[18:19]
; %bb.126:
	s_andn2_saveexec_b64 s[0:1], s[0:1]
; %bb.127:
	v_bfe_u32 v28, v18, 23, 1
; %bb.128:
	s_or_b64 exec, exec, s[0:1]
	v_lshrrev_b64 v[18:19], 20, v[18:19]
	v_cmp_gt_i32_e32 vcc, 16, v28
	v_cndmask_b32_e32 v19, 0, v19, vcc
	v_cndmask_b32_e32 v18, 7, v18, vcc
	v_cmp_ne_u32_e32 vcc, 0, v28
	v_cmp_ne_u64_e64 s[0:1], 0, v[18:19]
	s_or_b64 s[0:1], vcc, s[0:1]
                                        ; implicit-def: $vgpr25
	s_and_saveexec_b64 s[18:19], s[0:1]
	s_xor_b64 s[0:1], exec, s[18:19]
; %bb.129:
	v_min_i32_e32 v19, 15, v28
	v_lshl_or_b32 v2, v19, 3, v2
	v_and_or_b32 v25, v18, 7, v2
                                        ; implicit-def: $vgpr2
; %bb.130:
	s_andn2_saveexec_b64 s[0:1], s[0:1]
; %bb.131:
	v_mov_b32_e32 v25, v2
; %bb.132:
	s_or_b64 exec, exec, s[0:1]
.LBB8_133:
	s_or_b64 exec, exec, s[16:17]
.LBB8_134:
	s_andn2_saveexec_b64 s[0:1], s[14:15]
	s_or_b64 exec, exec, s[0:1]
                                        ; implicit-def: $vgpr28
                                        ; implicit-def: $vgpr18_vgpr19
.LBB8_135:
	s_andn2_saveexec_b64 s[0:1], s[8:9]
; %bb.136:
	s_movk_i32 s8, 0x7f
	v_or_b32_sdwa v2, v28, s8 dst_sel:DWORD dst_unused:UNUSED_PAD src0_sel:BYTE_3 src1_sel:DWORD
	v_cmp_eq_u64_e32 vcc, 0, v[18:19]
	v_cndmask_b32_e32 v25, v2, v25, vcc
; %bb.137:
	s_or_b64 exec, exec, s[0:1]
	v_mul_f32_e32 v2, v23, v3
	v_max_f32_e32 v2, 0xc3e00000, v2
	v_min_f32_e32 v28, 0x43e00000, v2
	v_mov_b32_e32 v3, 0
	s_movk_i32 s0, 0x80
	v_and_b32_sdwa v19, v28, s0 dst_sel:DWORD dst_unused:UNUSED_PAD src0_sel:BYTE_3 src1_sel:DWORD
	v_and_b32_e32 v30, 0x7f800000, v28
	v_mov_b32_e32 v31, v3
	s_mov_b64 s[0:1], 0x7f800000
	v_and_b32_e32 v2, 0x7fffff, v28
	v_or_b32_e32 v18, 0x7e, v19
	v_cmp_ne_u64_e32 vcc, s[0:1], v[30:31]
	s_and_saveexec_b64 s[0:1], vcc
	s_xor_b64 s[8:9], exec, s[0:1]
	s_cbranch_execz .LBB8_151
; %bb.138:
	v_and_b32_e32 v30, 0x7fffffff, v28
	v_mov_b32_e32 v31, v3
	s_mov_b64 s[0:1], 0x43e00001
	v_cmp_gt_u64_e32 vcc, s[0:1], v[30:31]
	s_and_saveexec_b64 s[0:1], vcc
	s_xor_b64 s[14:15], exec, s[0:1]
	s_cbranch_execz .LBB8_150
; %bb.139:
	v_cmp_ne_u32_e32 vcc, 0, v28
	v_mov_b32_e32 v18, 0
	s_and_saveexec_b64 s[16:17], vcc
	s_cbranch_execz .LBB8_149
; %bb.140:
	v_bfe_u32 v18, v28, 23, 8
	s_movk_i32 s0, 0x7a
	v_sub_u32_e32 v29, 0x79, v18
	v_cmp_gt_u32_e32 vcc, s0, v18
	v_add_u32_e32 v28, 0xffffff81, v18
	v_cndmask_b32_e32 v29, 0, v29, vcc
	v_mov_b32_e32 v31, 0xffffff82
	v_cmp_eq_u32_e32 vcc, 0, v18
	v_cndmask_b32_e32 v18, v28, v31, vcc
	v_mov_b32_e32 v28, 0x78
	v_cndmask_b32_e32 v34, v29, v28, vcc
	v_add_u32_e32 v28, 20, v34
	v_or_b32_e32 v30, 0x800000, v2
	v_lshlrev_b64 v[28:29], v28, -1
	v_cndmask_b32_e32 v2, v30, v2, vcc
	v_not_b32_e32 v28, v28
	v_and_b32_e32 v30, v2, v28
	v_add_u32_e32 v28, 19, v34
	v_lshrrev_b64 v[2:3], v34, v[2:3]
	v_not_b32_e32 v29, v29
	v_lshlrev_b64 v[32:33], v28, 1
	v_lshrrev_b32_e32 v28, 23, v2
	v_and_b32_e32 v31, 0, v29
	v_add3_u32 v29, v34, v18, v28
	v_bfe_u32 v28, v2, 20, 1
	v_add_u32_e32 v28, -1, v28
	v_cmp_eq_u64_e32 vcc, v[30:31], v[32:33]
	v_cndmask_b32_e32 v28, 0, v28, vcc
	v_add_u32_e32 v28, v28, v2
	v_and_b32_e32 v28, 0xfffff, v28
	v_add_co_u32_e32 v2, vcc, v28, v2
	v_add_u32_e32 v18, 6, v29
	v_addc_co_u32_e32 v3, vcc, 0, v3, vcc
	v_cmp_ne_u32_e32 vcc, 0, v18
                                        ; implicit-def: $vgpr28
	s_and_saveexec_b64 s[0:1], vcc
	s_xor_b64 s[0:1], exec, s[0:1]
; %bb.141:
	s_mov_b64 s[18:19], 0xffffff
	v_add_u32_e32 v28, 7, v29
	v_cmp_lt_u64_e32 vcc, s[18:19], v[2:3]
	v_cndmask_b32_e32 v28, v18, v28, vcc
	v_cndmask_b32_e64 v18, 0, 1, vcc
	v_lshrrev_b64 v[2:3], v18, v[2:3]
; %bb.142:
	s_andn2_saveexec_b64 s[0:1], s[0:1]
; %bb.143:
	v_bfe_u32 v28, v2, 23, 1
; %bb.144:
	s_or_b64 exec, exec, s[0:1]
	v_lshrrev_b64 v[2:3], 20, v[2:3]
	v_cmp_gt_i32_e32 vcc, 16, v28
	v_cndmask_b32_e32 v3, 0, v3, vcc
	v_cndmask_b32_e32 v2, 7, v2, vcc
	v_cmp_ne_u32_e32 vcc, 0, v28
	v_cmp_ne_u64_e64 s[0:1], 0, v[2:3]
	s_or_b64 s[0:1], vcc, s[0:1]
                                        ; implicit-def: $vgpr18
	s_and_saveexec_b64 s[18:19], s[0:1]
	s_xor_b64 s[0:1], exec, s[18:19]
; %bb.145:
	v_min_i32_e32 v3, 15, v28
	v_lshl_or_b32 v3, v3, 3, v19
	v_and_or_b32 v18, v2, 7, v3
                                        ; implicit-def: $vgpr19
; %bb.146:
	s_andn2_saveexec_b64 s[0:1], s[0:1]
; %bb.147:
	v_mov_b32_e32 v18, v19
; %bb.148:
	s_or_b64 exec, exec, s[0:1]
.LBB8_149:
	s_or_b64 exec, exec, s[16:17]
.LBB8_150:
	s_andn2_saveexec_b64 s[0:1], s[14:15]
	s_or_b64 exec, exec, s[0:1]
                                        ; implicit-def: $vgpr28
                                        ; implicit-def: $vgpr2_vgpr3
.LBB8_151:
	s_andn2_saveexec_b64 s[0:1], s[8:9]
; %bb.152:
	s_movk_i32 s8, 0x7f
	v_or_b32_sdwa v19, v28, s8 dst_sel:DWORD dst_unused:UNUSED_PAD src0_sel:BYTE_3 src1_sel:DWORD
	v_cmp_eq_u64_e32 vcc, 0, v[2:3]
	v_cndmask_b32_e32 v18, v19, v18, vcc
; %bb.153:
	s_or_b64 exec, exec, s[0:1]
	v_mul_f32_e32 v2, v23, v4
	v_max_f32_e32 v2, 0xc3e00000, v2
	v_min_f32_e32 v28, 0x43e00000, v2
	v_mov_b32_e32 v3, 0
	s_movk_i32 s0, 0x80
	v_and_b32_sdwa v19, v28, s0 dst_sel:DWORD dst_unused:UNUSED_PAD src0_sel:BYTE_3 src1_sel:DWORD
	v_and_b32_e32 v30, 0x7f800000, v28
	v_mov_b32_e32 v31, v3
	s_mov_b64 s[0:1], 0x7f800000
	v_and_b32_e32 v2, 0x7fffff, v28
	v_or_b32_e32 v4, 0x7e, v19
	v_cmp_ne_u64_e32 vcc, s[0:1], v[30:31]
	s_and_saveexec_b64 s[0:1], vcc
	s_xor_b64 s[8:9], exec, s[0:1]
	s_cbranch_execz .LBB8_167
; %bb.154:
	v_and_b32_e32 v30, 0x7fffffff, v28
	v_mov_b32_e32 v31, v3
	s_mov_b64 s[0:1], 0x43e00001
	v_cmp_gt_u64_e32 vcc, s[0:1], v[30:31]
	s_and_saveexec_b64 s[0:1], vcc
	s_xor_b64 s[14:15], exec, s[0:1]
	s_cbranch_execz .LBB8_166
; %bb.155:
	v_cmp_ne_u32_e32 vcc, 0, v28
	v_mov_b32_e32 v4, 0
	s_and_saveexec_b64 s[16:17], vcc
	s_cbranch_execz .LBB8_165
; %bb.156:
	v_bfe_u32 v4, v28, 23, 8
	s_movk_i32 s0, 0x7a
	v_sub_u32_e32 v29, 0x79, v4
	v_cmp_gt_u32_e32 vcc, s0, v4
	v_add_u32_e32 v28, 0xffffff81, v4
	v_cndmask_b32_e32 v29, 0, v29, vcc
	v_mov_b32_e32 v31, 0xffffff82
	v_cmp_eq_u32_e32 vcc, 0, v4
	v_cndmask_b32_e32 v4, v28, v31, vcc
	v_mov_b32_e32 v28, 0x78
	v_cndmask_b32_e32 v34, v29, v28, vcc
	v_add_u32_e32 v28, 20, v34
	v_or_b32_e32 v30, 0x800000, v2
	v_lshlrev_b64 v[28:29], v28, -1
	v_cndmask_b32_e32 v2, v30, v2, vcc
	v_not_b32_e32 v28, v28
	v_and_b32_e32 v30, v2, v28
	v_add_u32_e32 v28, 19, v34
	v_lshrrev_b64 v[2:3], v34, v[2:3]
	v_not_b32_e32 v29, v29
	v_lshlrev_b64 v[32:33], v28, 1
	v_lshrrev_b32_e32 v28, 23, v2
	v_and_b32_e32 v31, 0, v29
	v_add3_u32 v29, v34, v4, v28
	v_bfe_u32 v28, v2, 20, 1
	v_add_u32_e32 v28, -1, v28
	v_cmp_eq_u64_e32 vcc, v[30:31], v[32:33]
	v_cndmask_b32_e32 v28, 0, v28, vcc
	v_add_u32_e32 v28, v28, v2
	v_and_b32_e32 v28, 0xfffff, v28
	v_add_co_u32_e32 v2, vcc, v28, v2
	v_add_u32_e32 v4, 6, v29
	v_addc_co_u32_e32 v3, vcc, 0, v3, vcc
	v_cmp_ne_u32_e32 vcc, 0, v4
                                        ; implicit-def: $vgpr28
	s_and_saveexec_b64 s[0:1], vcc
	s_xor_b64 s[0:1], exec, s[0:1]
; %bb.157:
	s_mov_b64 s[18:19], 0xffffff
	v_add_u32_e32 v28, 7, v29
	v_cmp_lt_u64_e32 vcc, s[18:19], v[2:3]
	v_cndmask_b32_e32 v28, v4, v28, vcc
	v_cndmask_b32_e64 v4, 0, 1, vcc
	v_lshrrev_b64 v[2:3], v4, v[2:3]
; %bb.158:
	s_andn2_saveexec_b64 s[0:1], s[0:1]
; %bb.159:
	v_bfe_u32 v28, v2, 23, 1
; %bb.160:
	s_or_b64 exec, exec, s[0:1]
	v_lshrrev_b64 v[2:3], 20, v[2:3]
	v_cmp_gt_i32_e32 vcc, 16, v28
	v_cndmask_b32_e32 v3, 0, v3, vcc
	v_cndmask_b32_e32 v2, 7, v2, vcc
	v_cmp_ne_u32_e32 vcc, 0, v28
	v_cmp_ne_u64_e64 s[0:1], 0, v[2:3]
	s_or_b64 s[0:1], vcc, s[0:1]
                                        ; implicit-def: $vgpr4
	s_and_saveexec_b64 s[18:19], s[0:1]
	s_xor_b64 s[0:1], exec, s[18:19]
; %bb.161:
	v_min_i32_e32 v3, 15, v28
	v_lshl_or_b32 v3, v3, 3, v19
	v_and_or_b32 v4, v2, 7, v3
                                        ; implicit-def: $vgpr19
; %bb.162:
	s_andn2_saveexec_b64 s[0:1], s[0:1]
; %bb.163:
	v_mov_b32_e32 v4, v19
; %bb.164:
	s_or_b64 exec, exec, s[0:1]
.LBB8_165:
	s_or_b64 exec, exec, s[16:17]
.LBB8_166:
	s_andn2_saveexec_b64 s[0:1], s[14:15]
	s_or_b64 exec, exec, s[0:1]
                                        ; implicit-def: $vgpr28
                                        ; implicit-def: $vgpr2_vgpr3
.LBB8_167:
	s_andn2_saveexec_b64 s[0:1], s[8:9]
; %bb.168:
	s_movk_i32 s8, 0x7f
	v_or_b32_sdwa v19, v28, s8 dst_sel:DWORD dst_unused:UNUSED_PAD src0_sel:BYTE_3 src1_sel:DWORD
	v_cmp_eq_u64_e32 vcc, 0, v[2:3]
	v_cndmask_b32_e32 v4, v19, v4, vcc
; %bb.169:
	s_or_b64 exec, exec, s[0:1]
	v_mul_f32_e32 v2, v23, v5
	v_max_f32_e32 v2, 0xc3e00000, v2
	v_min_f32_e32 v28, 0x43e00000, v2
	v_mov_b32_e32 v3, 0
	s_movk_i32 s0, 0x80
	v_and_b32_sdwa v19, v28, s0 dst_sel:DWORD dst_unused:UNUSED_PAD src0_sel:BYTE_3 src1_sel:DWORD
	v_and_b32_e32 v30, 0x7f800000, v28
	v_mov_b32_e32 v31, v3
	s_mov_b64 s[0:1], 0x7f800000
	v_and_b32_e32 v2, 0x7fffff, v28
	v_or_b32_e32 v5, 0x7e, v19
	v_cmp_ne_u64_e32 vcc, s[0:1], v[30:31]
	s_and_saveexec_b64 s[0:1], vcc
	s_xor_b64 s[8:9], exec, s[0:1]
	s_cbranch_execz .LBB8_183
; %bb.170:
	v_and_b32_e32 v30, 0x7fffffff, v28
	v_mov_b32_e32 v31, v3
	s_mov_b64 s[0:1], 0x43e00001
	v_cmp_gt_u64_e32 vcc, s[0:1], v[30:31]
	s_and_saveexec_b64 s[0:1], vcc
	s_xor_b64 s[14:15], exec, s[0:1]
	s_cbranch_execz .LBB8_182
; %bb.171:
	v_cmp_ne_u32_e32 vcc, 0, v28
	v_mov_b32_e32 v5, 0
	s_and_saveexec_b64 s[16:17], vcc
	s_cbranch_execz .LBB8_181
; %bb.172:
	v_bfe_u32 v5, v28, 23, 8
	s_movk_i32 s0, 0x7a
	v_sub_u32_e32 v29, 0x79, v5
	v_cmp_gt_u32_e32 vcc, s0, v5
	v_add_u32_e32 v28, 0xffffff81, v5
	v_cndmask_b32_e32 v29, 0, v29, vcc
	v_mov_b32_e32 v31, 0xffffff82
	v_cmp_eq_u32_e32 vcc, 0, v5
	v_cndmask_b32_e32 v5, v28, v31, vcc
	v_mov_b32_e32 v28, 0x78
	v_cndmask_b32_e32 v34, v29, v28, vcc
	v_add_u32_e32 v28, 20, v34
	v_or_b32_e32 v30, 0x800000, v2
	v_lshlrev_b64 v[28:29], v28, -1
	v_cndmask_b32_e32 v2, v30, v2, vcc
	v_not_b32_e32 v28, v28
	v_and_b32_e32 v30, v2, v28
	v_add_u32_e32 v28, 19, v34
	v_lshrrev_b64 v[2:3], v34, v[2:3]
	v_not_b32_e32 v29, v29
	v_lshlrev_b64 v[32:33], v28, 1
	v_lshrrev_b32_e32 v28, 23, v2
	v_and_b32_e32 v31, 0, v29
	v_add3_u32 v29, v34, v5, v28
	v_bfe_u32 v28, v2, 20, 1
	v_add_u32_e32 v28, -1, v28
	v_cmp_eq_u64_e32 vcc, v[30:31], v[32:33]
	v_cndmask_b32_e32 v28, 0, v28, vcc
	v_add_u32_e32 v28, v28, v2
	v_and_b32_e32 v28, 0xfffff, v28
	v_add_co_u32_e32 v2, vcc, v28, v2
	v_add_u32_e32 v5, 6, v29
	v_addc_co_u32_e32 v3, vcc, 0, v3, vcc
	v_cmp_ne_u32_e32 vcc, 0, v5
                                        ; implicit-def: $vgpr28
	s_and_saveexec_b64 s[0:1], vcc
	s_xor_b64 s[0:1], exec, s[0:1]
; %bb.173:
	s_mov_b64 s[18:19], 0xffffff
	v_add_u32_e32 v28, 7, v29
	v_cmp_lt_u64_e32 vcc, s[18:19], v[2:3]
	v_cndmask_b32_e32 v28, v5, v28, vcc
	v_cndmask_b32_e64 v5, 0, 1, vcc
	v_lshrrev_b64 v[2:3], v5, v[2:3]
; %bb.174:
	s_andn2_saveexec_b64 s[0:1], s[0:1]
; %bb.175:
	v_bfe_u32 v28, v2, 23, 1
; %bb.176:
	s_or_b64 exec, exec, s[0:1]
	v_lshrrev_b64 v[2:3], 20, v[2:3]
	v_cmp_gt_i32_e32 vcc, 16, v28
	v_cndmask_b32_e32 v3, 0, v3, vcc
	v_cndmask_b32_e32 v2, 7, v2, vcc
	v_cmp_ne_u32_e32 vcc, 0, v28
	v_cmp_ne_u64_e64 s[0:1], 0, v[2:3]
	s_or_b64 s[0:1], vcc, s[0:1]
                                        ; implicit-def: $vgpr5
	s_and_saveexec_b64 s[18:19], s[0:1]
	s_xor_b64 s[0:1], exec, s[18:19]
; %bb.177:
	v_min_i32_e32 v3, 15, v28
	v_lshl_or_b32 v3, v3, 3, v19
	v_and_or_b32 v5, v2, 7, v3
                                        ; implicit-def: $vgpr19
; %bb.178:
	s_andn2_saveexec_b64 s[0:1], s[0:1]
; %bb.179:
	v_mov_b32_e32 v5, v19
; %bb.180:
	s_or_b64 exec, exec, s[0:1]
.LBB8_181:
	s_or_b64 exec, exec, s[16:17]
.LBB8_182:
	s_andn2_saveexec_b64 s[0:1], s[14:15]
	s_or_b64 exec, exec, s[0:1]
                                        ; implicit-def: $vgpr28
                                        ; implicit-def: $vgpr2_vgpr3
.LBB8_183:
	s_andn2_saveexec_b64 s[0:1], s[8:9]
; %bb.184:
	s_movk_i32 s8, 0x7f
	v_or_b32_sdwa v19, v28, s8 dst_sel:DWORD dst_unused:UNUSED_PAD src0_sel:BYTE_3 src1_sel:DWORD
	v_cmp_eq_u64_e32 vcc, 0, v[2:3]
	v_cndmask_b32_e32 v5, v19, v5, vcc
; %bb.185:
	s_or_b64 exec, exec, s[0:1]
	v_mul_f32_e32 v2, v23, v6
	v_max_f32_e32 v2, 0xc3e00000, v2
	v_min_f32_e32 v28, 0x43e00000, v2
	v_mov_b32_e32 v3, 0
	s_movk_i32 s0, 0x80
	v_and_b32_sdwa v19, v28, s0 dst_sel:DWORD dst_unused:UNUSED_PAD src0_sel:BYTE_3 src1_sel:DWORD
	v_and_b32_e32 v30, 0x7f800000, v28
	v_mov_b32_e32 v31, v3
	s_mov_b64 s[0:1], 0x7f800000
	v_and_b32_e32 v2, 0x7fffff, v28
	v_or_b32_e32 v6, 0x7e, v19
	v_cmp_ne_u64_e32 vcc, s[0:1], v[30:31]
	s_and_saveexec_b64 s[0:1], vcc
	s_xor_b64 s[8:9], exec, s[0:1]
	s_cbranch_execz .LBB8_199
; %bb.186:
	v_and_b32_e32 v30, 0x7fffffff, v28
	v_mov_b32_e32 v31, v3
	s_mov_b64 s[0:1], 0x43e00001
	v_cmp_gt_u64_e32 vcc, s[0:1], v[30:31]
	s_and_saveexec_b64 s[0:1], vcc
	s_xor_b64 s[14:15], exec, s[0:1]
	s_cbranch_execz .LBB8_198
; %bb.187:
	v_cmp_ne_u32_e32 vcc, 0, v28
	v_mov_b32_e32 v6, 0
	s_and_saveexec_b64 s[16:17], vcc
	s_cbranch_execz .LBB8_197
; %bb.188:
	v_bfe_u32 v6, v28, 23, 8
	s_movk_i32 s0, 0x7a
	v_sub_u32_e32 v29, 0x79, v6
	v_cmp_gt_u32_e32 vcc, s0, v6
	v_add_u32_e32 v28, 0xffffff81, v6
	v_cndmask_b32_e32 v29, 0, v29, vcc
	v_mov_b32_e32 v31, 0xffffff82
	v_cmp_eq_u32_e32 vcc, 0, v6
	v_cndmask_b32_e32 v6, v28, v31, vcc
	v_mov_b32_e32 v28, 0x78
	v_cndmask_b32_e32 v34, v29, v28, vcc
	v_add_u32_e32 v28, 20, v34
	v_or_b32_e32 v30, 0x800000, v2
	v_lshlrev_b64 v[28:29], v28, -1
	v_cndmask_b32_e32 v2, v30, v2, vcc
	v_not_b32_e32 v28, v28
	v_and_b32_e32 v30, v2, v28
	v_add_u32_e32 v28, 19, v34
	v_lshrrev_b64 v[2:3], v34, v[2:3]
	v_not_b32_e32 v29, v29
	v_lshlrev_b64 v[32:33], v28, 1
	v_lshrrev_b32_e32 v28, 23, v2
	v_and_b32_e32 v31, 0, v29
	v_add3_u32 v29, v34, v6, v28
	v_bfe_u32 v28, v2, 20, 1
	v_add_u32_e32 v28, -1, v28
	v_cmp_eq_u64_e32 vcc, v[30:31], v[32:33]
	v_cndmask_b32_e32 v28, 0, v28, vcc
	v_add_u32_e32 v28, v28, v2
	v_and_b32_e32 v28, 0xfffff, v28
	v_add_co_u32_e32 v2, vcc, v28, v2
	v_add_u32_e32 v6, 6, v29
	v_addc_co_u32_e32 v3, vcc, 0, v3, vcc
	v_cmp_ne_u32_e32 vcc, 0, v6
                                        ; implicit-def: $vgpr28
	s_and_saveexec_b64 s[0:1], vcc
	s_xor_b64 s[0:1], exec, s[0:1]
; %bb.189:
	s_mov_b64 s[18:19], 0xffffff
	v_add_u32_e32 v28, 7, v29
	v_cmp_lt_u64_e32 vcc, s[18:19], v[2:3]
	v_cndmask_b32_e32 v28, v6, v28, vcc
	v_cndmask_b32_e64 v6, 0, 1, vcc
	v_lshrrev_b64 v[2:3], v6, v[2:3]
; %bb.190:
	s_andn2_saveexec_b64 s[0:1], s[0:1]
; %bb.191:
	v_bfe_u32 v28, v2, 23, 1
; %bb.192:
	s_or_b64 exec, exec, s[0:1]
	v_lshrrev_b64 v[2:3], 20, v[2:3]
	v_cmp_gt_i32_e32 vcc, 16, v28
	v_cndmask_b32_e32 v3, 0, v3, vcc
	v_cndmask_b32_e32 v2, 7, v2, vcc
	v_cmp_ne_u32_e32 vcc, 0, v28
	v_cmp_ne_u64_e64 s[0:1], 0, v[2:3]
	s_or_b64 s[0:1], vcc, s[0:1]
                                        ; implicit-def: $vgpr6
	s_and_saveexec_b64 s[18:19], s[0:1]
	s_xor_b64 s[0:1], exec, s[18:19]
; %bb.193:
	v_min_i32_e32 v3, 15, v28
	v_lshl_or_b32 v3, v3, 3, v19
	v_and_or_b32 v6, v2, 7, v3
                                        ; implicit-def: $vgpr19
; %bb.194:
	s_andn2_saveexec_b64 s[0:1], s[0:1]
; %bb.195:
	v_mov_b32_e32 v6, v19
; %bb.196:
	s_or_b64 exec, exec, s[0:1]
.LBB8_197:
	s_or_b64 exec, exec, s[16:17]
.LBB8_198:
	s_andn2_saveexec_b64 s[0:1], s[14:15]
	s_or_b64 exec, exec, s[0:1]
                                        ; implicit-def: $vgpr28
                                        ; implicit-def: $vgpr2_vgpr3
.LBB8_199:
	s_andn2_saveexec_b64 s[0:1], s[8:9]
; %bb.200:
	s_movk_i32 s8, 0x7f
	v_or_b32_sdwa v19, v28, s8 dst_sel:DWORD dst_unused:UNUSED_PAD src0_sel:BYTE_3 src1_sel:DWORD
	v_cmp_eq_u64_e32 vcc, 0, v[2:3]
	v_cndmask_b32_e32 v6, v19, v6, vcc
; %bb.201:
	s_or_b64 exec, exec, s[0:1]
	v_mul_f32_e32 v2, v23, v7
	v_max_f32_e32 v2, 0xc3e00000, v2
	v_min_f32_e32 v28, 0x43e00000, v2
	v_mov_b32_e32 v3, 0
	s_movk_i32 s0, 0x80
	v_and_b32_sdwa v19, v28, s0 dst_sel:DWORD dst_unused:UNUSED_PAD src0_sel:BYTE_3 src1_sel:DWORD
	v_and_b32_e32 v30, 0x7f800000, v28
	v_mov_b32_e32 v31, v3
	s_mov_b64 s[0:1], 0x7f800000
	v_and_b32_e32 v2, 0x7fffff, v28
	v_or_b32_e32 v7, 0x7e, v19
	v_cmp_ne_u64_e32 vcc, s[0:1], v[30:31]
	s_and_saveexec_b64 s[0:1], vcc
	s_xor_b64 s[8:9], exec, s[0:1]
	s_cbranch_execz .LBB8_215
; %bb.202:
	v_and_b32_e32 v30, 0x7fffffff, v28
	v_mov_b32_e32 v31, v3
	s_mov_b64 s[0:1], 0x43e00001
	v_cmp_gt_u64_e32 vcc, s[0:1], v[30:31]
	s_and_saveexec_b64 s[0:1], vcc
	s_xor_b64 s[14:15], exec, s[0:1]
	s_cbranch_execz .LBB8_214
; %bb.203:
	v_cmp_ne_u32_e32 vcc, 0, v28
	v_mov_b32_e32 v7, 0
	s_and_saveexec_b64 s[16:17], vcc
	s_cbranch_execz .LBB8_213
; %bb.204:
	v_bfe_u32 v7, v28, 23, 8
	s_movk_i32 s0, 0x7a
	v_sub_u32_e32 v29, 0x79, v7
	v_cmp_gt_u32_e32 vcc, s0, v7
	v_add_u32_e32 v28, 0xffffff81, v7
	v_cndmask_b32_e32 v29, 0, v29, vcc
	v_mov_b32_e32 v31, 0xffffff82
	v_cmp_eq_u32_e32 vcc, 0, v7
	v_cndmask_b32_e32 v7, v28, v31, vcc
	v_mov_b32_e32 v28, 0x78
	v_cndmask_b32_e32 v34, v29, v28, vcc
	v_add_u32_e32 v28, 20, v34
	v_or_b32_e32 v30, 0x800000, v2
	v_lshlrev_b64 v[28:29], v28, -1
	v_cndmask_b32_e32 v2, v30, v2, vcc
	v_not_b32_e32 v28, v28
	v_and_b32_e32 v30, v2, v28
	v_add_u32_e32 v28, 19, v34
	v_lshrrev_b64 v[2:3], v34, v[2:3]
	v_not_b32_e32 v29, v29
	v_lshlrev_b64 v[32:33], v28, 1
	v_lshrrev_b32_e32 v28, 23, v2
	v_and_b32_e32 v31, 0, v29
	v_add3_u32 v29, v34, v7, v28
	v_bfe_u32 v28, v2, 20, 1
	v_add_u32_e32 v28, -1, v28
	v_cmp_eq_u64_e32 vcc, v[30:31], v[32:33]
	v_cndmask_b32_e32 v28, 0, v28, vcc
	v_add_u32_e32 v28, v28, v2
	v_and_b32_e32 v28, 0xfffff, v28
	v_add_co_u32_e32 v2, vcc, v28, v2
	v_add_u32_e32 v7, 6, v29
	v_addc_co_u32_e32 v3, vcc, 0, v3, vcc
	v_cmp_ne_u32_e32 vcc, 0, v7
                                        ; implicit-def: $vgpr28
	s_and_saveexec_b64 s[0:1], vcc
	s_xor_b64 s[0:1], exec, s[0:1]
; %bb.205:
	s_mov_b64 s[18:19], 0xffffff
	v_add_u32_e32 v28, 7, v29
	v_cmp_lt_u64_e32 vcc, s[18:19], v[2:3]
	v_cndmask_b32_e32 v28, v7, v28, vcc
	v_cndmask_b32_e64 v7, 0, 1, vcc
	v_lshrrev_b64 v[2:3], v7, v[2:3]
; %bb.206:
	s_andn2_saveexec_b64 s[0:1], s[0:1]
; %bb.207:
	v_bfe_u32 v28, v2, 23, 1
; %bb.208:
	s_or_b64 exec, exec, s[0:1]
	v_lshrrev_b64 v[2:3], 20, v[2:3]
	v_cmp_gt_i32_e32 vcc, 16, v28
	v_cndmask_b32_e32 v3, 0, v3, vcc
	v_cndmask_b32_e32 v2, 7, v2, vcc
	v_cmp_ne_u32_e32 vcc, 0, v28
	v_cmp_ne_u64_e64 s[0:1], 0, v[2:3]
	s_or_b64 s[0:1], vcc, s[0:1]
                                        ; implicit-def: $vgpr7
	s_and_saveexec_b64 s[18:19], s[0:1]
	s_xor_b64 s[0:1], exec, s[18:19]
; %bb.209:
	v_min_i32_e32 v3, 15, v28
	v_lshl_or_b32 v3, v3, 3, v19
	v_and_or_b32 v7, v2, 7, v3
                                        ; implicit-def: $vgpr19
; %bb.210:
	s_andn2_saveexec_b64 s[0:1], s[0:1]
; %bb.211:
	v_mov_b32_e32 v7, v19
; %bb.212:
	s_or_b64 exec, exec, s[0:1]
.LBB8_213:
	s_or_b64 exec, exec, s[16:17]
.LBB8_214:
	s_andn2_saveexec_b64 s[0:1], s[14:15]
	s_or_b64 exec, exec, s[0:1]
                                        ; implicit-def: $vgpr28
                                        ; implicit-def: $vgpr2_vgpr3
.LBB8_215:
	s_andn2_saveexec_b64 s[0:1], s[8:9]
; %bb.216:
	s_movk_i32 s8, 0x7f
	v_or_b32_sdwa v19, v28, s8 dst_sel:DWORD dst_unused:UNUSED_PAD src0_sel:BYTE_3 src1_sel:DWORD
	v_cmp_eq_u64_e32 vcc, 0, v[2:3]
	v_cndmask_b32_e32 v7, v19, v7, vcc
; %bb.217:
	s_or_b64 exec, exec, s[0:1]
	v_mul_f32_e32 v2, v23, v8
	v_max_f32_e32 v2, 0xc3e00000, v2
	v_min_f32_e32 v28, 0x43e00000, v2
	v_mov_b32_e32 v3, 0
	s_movk_i32 s0, 0x80
	v_and_b32_sdwa v19, v28, s0 dst_sel:DWORD dst_unused:UNUSED_PAD src0_sel:BYTE_3 src1_sel:DWORD
	v_and_b32_e32 v30, 0x7f800000, v28
	v_mov_b32_e32 v31, v3
	s_mov_b64 s[0:1], 0x7f800000
	v_and_b32_e32 v2, 0x7fffff, v28
	v_or_b32_e32 v8, 0x7e, v19
	v_cmp_ne_u64_e32 vcc, s[0:1], v[30:31]
	s_and_saveexec_b64 s[0:1], vcc
	s_xor_b64 s[8:9], exec, s[0:1]
	s_cbranch_execz .LBB8_231
; %bb.218:
	v_and_b32_e32 v30, 0x7fffffff, v28
	v_mov_b32_e32 v31, v3
	s_mov_b64 s[0:1], 0x43e00001
	v_cmp_gt_u64_e32 vcc, s[0:1], v[30:31]
	s_and_saveexec_b64 s[0:1], vcc
	s_xor_b64 s[14:15], exec, s[0:1]
	s_cbranch_execz .LBB8_230
; %bb.219:
	v_cmp_ne_u32_e32 vcc, 0, v28
	v_mov_b32_e32 v8, 0
	s_and_saveexec_b64 s[16:17], vcc
	s_cbranch_execz .LBB8_229
; %bb.220:
	v_bfe_u32 v8, v28, 23, 8
	s_movk_i32 s0, 0x7a
	v_sub_u32_e32 v29, 0x79, v8
	v_cmp_gt_u32_e32 vcc, s0, v8
	v_add_u32_e32 v28, 0xffffff81, v8
	v_cndmask_b32_e32 v29, 0, v29, vcc
	v_mov_b32_e32 v31, 0xffffff82
	v_cmp_eq_u32_e32 vcc, 0, v8
	v_cndmask_b32_e32 v8, v28, v31, vcc
	v_mov_b32_e32 v28, 0x78
	v_cndmask_b32_e32 v34, v29, v28, vcc
	v_add_u32_e32 v28, 20, v34
	v_or_b32_e32 v30, 0x800000, v2
	v_lshlrev_b64 v[28:29], v28, -1
	v_cndmask_b32_e32 v2, v30, v2, vcc
	v_not_b32_e32 v28, v28
	v_and_b32_e32 v30, v2, v28
	v_add_u32_e32 v28, 19, v34
	v_lshrrev_b64 v[2:3], v34, v[2:3]
	v_not_b32_e32 v29, v29
	v_lshlrev_b64 v[32:33], v28, 1
	v_lshrrev_b32_e32 v28, 23, v2
	v_and_b32_e32 v31, 0, v29
	v_add3_u32 v29, v34, v8, v28
	v_bfe_u32 v28, v2, 20, 1
	v_add_u32_e32 v28, -1, v28
	v_cmp_eq_u64_e32 vcc, v[30:31], v[32:33]
	v_cndmask_b32_e32 v28, 0, v28, vcc
	v_add_u32_e32 v28, v28, v2
	v_and_b32_e32 v28, 0xfffff, v28
	v_add_co_u32_e32 v2, vcc, v28, v2
	v_add_u32_e32 v8, 6, v29
	v_addc_co_u32_e32 v3, vcc, 0, v3, vcc
	v_cmp_ne_u32_e32 vcc, 0, v8
                                        ; implicit-def: $vgpr28
	s_and_saveexec_b64 s[0:1], vcc
	s_xor_b64 s[0:1], exec, s[0:1]
; %bb.221:
	s_mov_b64 s[18:19], 0xffffff
	v_add_u32_e32 v28, 7, v29
	v_cmp_lt_u64_e32 vcc, s[18:19], v[2:3]
	v_cndmask_b32_e32 v28, v8, v28, vcc
	v_cndmask_b32_e64 v8, 0, 1, vcc
	v_lshrrev_b64 v[2:3], v8, v[2:3]
; %bb.222:
	s_andn2_saveexec_b64 s[0:1], s[0:1]
; %bb.223:
	v_bfe_u32 v28, v2, 23, 1
; %bb.224:
	s_or_b64 exec, exec, s[0:1]
	v_lshrrev_b64 v[2:3], 20, v[2:3]
	v_cmp_gt_i32_e32 vcc, 16, v28
	v_cndmask_b32_e32 v3, 0, v3, vcc
	v_cndmask_b32_e32 v2, 7, v2, vcc
	v_cmp_ne_u32_e32 vcc, 0, v28
	v_cmp_ne_u64_e64 s[0:1], 0, v[2:3]
	s_or_b64 s[0:1], vcc, s[0:1]
                                        ; implicit-def: $vgpr8
	s_and_saveexec_b64 s[18:19], s[0:1]
	s_xor_b64 s[0:1], exec, s[18:19]
; %bb.225:
	v_min_i32_e32 v3, 15, v28
	v_lshl_or_b32 v3, v3, 3, v19
	v_and_or_b32 v8, v2, 7, v3
                                        ; implicit-def: $vgpr19
; %bb.226:
	s_andn2_saveexec_b64 s[0:1], s[0:1]
; %bb.227:
	v_mov_b32_e32 v8, v19
; %bb.228:
	s_or_b64 exec, exec, s[0:1]
.LBB8_229:
	s_or_b64 exec, exec, s[16:17]
.LBB8_230:
	s_andn2_saveexec_b64 s[0:1], s[14:15]
	s_or_b64 exec, exec, s[0:1]
                                        ; implicit-def: $vgpr28
                                        ; implicit-def: $vgpr2_vgpr3
.LBB8_231:
	s_andn2_saveexec_b64 s[0:1], s[8:9]
; %bb.232:
	s_movk_i32 s8, 0x7f
	v_or_b32_sdwa v19, v28, s8 dst_sel:DWORD dst_unused:UNUSED_PAD src0_sel:BYTE_3 src1_sel:DWORD
	v_cmp_eq_u64_e32 vcc, 0, v[2:3]
	v_cndmask_b32_e32 v8, v19, v8, vcc
; %bb.233:
	s_or_b64 exec, exec, s[0:1]
	v_mul_f32_e32 v2, v23, v9
	v_max_f32_e32 v2, 0xc3e00000, v2
	v_min_f32_e32 v28, 0x43e00000, v2
	v_mov_b32_e32 v3, 0
	s_movk_i32 s0, 0x80
	v_and_b32_sdwa v19, v28, s0 dst_sel:DWORD dst_unused:UNUSED_PAD src0_sel:BYTE_3 src1_sel:DWORD
	v_and_b32_e32 v30, 0x7f800000, v28
	v_mov_b32_e32 v31, v3
	s_mov_b64 s[0:1], 0x7f800000
	v_and_b32_e32 v2, 0x7fffff, v28
	v_or_b32_e32 v9, 0x7e, v19
	v_cmp_ne_u64_e32 vcc, s[0:1], v[30:31]
	s_and_saveexec_b64 s[0:1], vcc
	s_xor_b64 s[8:9], exec, s[0:1]
	s_cbranch_execz .LBB8_247
; %bb.234:
	v_and_b32_e32 v30, 0x7fffffff, v28
	v_mov_b32_e32 v31, v3
	s_mov_b64 s[0:1], 0x43e00001
	v_cmp_gt_u64_e32 vcc, s[0:1], v[30:31]
	s_and_saveexec_b64 s[0:1], vcc
	s_xor_b64 s[14:15], exec, s[0:1]
	s_cbranch_execz .LBB8_246
; %bb.235:
	v_cmp_ne_u32_e32 vcc, 0, v28
	v_mov_b32_e32 v9, 0
	s_and_saveexec_b64 s[16:17], vcc
	s_cbranch_execz .LBB8_245
; %bb.236:
	v_bfe_u32 v9, v28, 23, 8
	s_movk_i32 s0, 0x7a
	v_sub_u32_e32 v29, 0x79, v9
	v_cmp_gt_u32_e32 vcc, s0, v9
	v_add_u32_e32 v28, 0xffffff81, v9
	v_cndmask_b32_e32 v29, 0, v29, vcc
	v_mov_b32_e32 v31, 0xffffff82
	v_cmp_eq_u32_e32 vcc, 0, v9
	v_cndmask_b32_e32 v9, v28, v31, vcc
	v_mov_b32_e32 v28, 0x78
	v_cndmask_b32_e32 v34, v29, v28, vcc
	v_add_u32_e32 v28, 20, v34
	v_or_b32_e32 v30, 0x800000, v2
	v_lshlrev_b64 v[28:29], v28, -1
	v_cndmask_b32_e32 v2, v30, v2, vcc
	v_not_b32_e32 v28, v28
	v_and_b32_e32 v30, v2, v28
	v_add_u32_e32 v28, 19, v34
	v_lshrrev_b64 v[2:3], v34, v[2:3]
	v_not_b32_e32 v29, v29
	v_lshlrev_b64 v[32:33], v28, 1
	v_lshrrev_b32_e32 v28, 23, v2
	v_and_b32_e32 v31, 0, v29
	v_add3_u32 v29, v34, v9, v28
	v_bfe_u32 v28, v2, 20, 1
	v_add_u32_e32 v28, -1, v28
	v_cmp_eq_u64_e32 vcc, v[30:31], v[32:33]
	v_cndmask_b32_e32 v28, 0, v28, vcc
	v_add_u32_e32 v28, v28, v2
	v_and_b32_e32 v28, 0xfffff, v28
	v_add_co_u32_e32 v2, vcc, v28, v2
	v_add_u32_e32 v9, 6, v29
	v_addc_co_u32_e32 v3, vcc, 0, v3, vcc
	v_cmp_ne_u32_e32 vcc, 0, v9
                                        ; implicit-def: $vgpr28
	s_and_saveexec_b64 s[0:1], vcc
	s_xor_b64 s[0:1], exec, s[0:1]
; %bb.237:
	s_mov_b64 s[18:19], 0xffffff
	v_add_u32_e32 v28, 7, v29
	v_cmp_lt_u64_e32 vcc, s[18:19], v[2:3]
	v_cndmask_b32_e32 v28, v9, v28, vcc
	v_cndmask_b32_e64 v9, 0, 1, vcc
	v_lshrrev_b64 v[2:3], v9, v[2:3]
; %bb.238:
	s_andn2_saveexec_b64 s[0:1], s[0:1]
; %bb.239:
	v_bfe_u32 v28, v2, 23, 1
; %bb.240:
	s_or_b64 exec, exec, s[0:1]
	v_lshrrev_b64 v[2:3], 20, v[2:3]
	v_cmp_gt_i32_e32 vcc, 16, v28
	v_cndmask_b32_e32 v3, 0, v3, vcc
	v_cndmask_b32_e32 v2, 7, v2, vcc
	v_cmp_ne_u32_e32 vcc, 0, v28
	v_cmp_ne_u64_e64 s[0:1], 0, v[2:3]
	s_or_b64 s[0:1], vcc, s[0:1]
                                        ; implicit-def: $vgpr9
	s_and_saveexec_b64 s[18:19], s[0:1]
	s_xor_b64 s[0:1], exec, s[18:19]
; %bb.241:
	v_min_i32_e32 v3, 15, v28
	v_lshl_or_b32 v3, v3, 3, v19
	v_and_or_b32 v9, v2, 7, v3
                                        ; implicit-def: $vgpr19
; %bb.242:
	s_andn2_saveexec_b64 s[0:1], s[0:1]
; %bb.243:
	v_mov_b32_e32 v9, v19
; %bb.244:
	s_or_b64 exec, exec, s[0:1]
.LBB8_245:
	s_or_b64 exec, exec, s[16:17]
.LBB8_246:
	s_andn2_saveexec_b64 s[0:1], s[14:15]
	s_or_b64 exec, exec, s[0:1]
                                        ; implicit-def: $vgpr28
                                        ; implicit-def: $vgpr2_vgpr3
.LBB8_247:
	s_andn2_saveexec_b64 s[0:1], s[8:9]
; %bb.248:
	s_movk_i32 s8, 0x7f
	v_or_b32_sdwa v19, v28, s8 dst_sel:DWORD dst_unused:UNUSED_PAD src0_sel:BYTE_3 src1_sel:DWORD
	v_cmp_eq_u64_e32 vcc, 0, v[2:3]
	v_cndmask_b32_e32 v9, v19, v9, vcc
; %bb.249:
	s_or_b64 exec, exec, s[0:1]
	v_mul_f32_e32 v2, v23, v10
	v_max_f32_e32 v2, 0xc3e00000, v2
	v_min_f32_e32 v28, 0x43e00000, v2
	v_mov_b32_e32 v3, 0
	s_movk_i32 s0, 0x80
	v_and_b32_sdwa v19, v28, s0 dst_sel:DWORD dst_unused:UNUSED_PAD src0_sel:BYTE_3 src1_sel:DWORD
	v_and_b32_e32 v30, 0x7f800000, v28
	v_mov_b32_e32 v31, v3
	s_mov_b64 s[0:1], 0x7f800000
	v_and_b32_e32 v2, 0x7fffff, v28
	v_or_b32_e32 v10, 0x7e, v19
	v_cmp_ne_u64_e32 vcc, s[0:1], v[30:31]
	s_and_saveexec_b64 s[0:1], vcc
	s_xor_b64 s[8:9], exec, s[0:1]
	s_cbranch_execz .LBB8_263
; %bb.250:
	v_and_b32_e32 v30, 0x7fffffff, v28
	v_mov_b32_e32 v31, v3
	s_mov_b64 s[0:1], 0x43e00001
	v_cmp_gt_u64_e32 vcc, s[0:1], v[30:31]
	s_and_saveexec_b64 s[0:1], vcc
	s_xor_b64 s[14:15], exec, s[0:1]
	s_cbranch_execz .LBB8_262
; %bb.251:
	v_cmp_ne_u32_e32 vcc, 0, v28
	v_mov_b32_e32 v10, 0
	s_and_saveexec_b64 s[16:17], vcc
	s_cbranch_execz .LBB8_261
; %bb.252:
	v_bfe_u32 v10, v28, 23, 8
	s_movk_i32 s0, 0x7a
	v_sub_u32_e32 v29, 0x79, v10
	v_cmp_gt_u32_e32 vcc, s0, v10
	v_add_u32_e32 v28, 0xffffff81, v10
	v_cndmask_b32_e32 v29, 0, v29, vcc
	v_mov_b32_e32 v31, 0xffffff82
	v_cmp_eq_u32_e32 vcc, 0, v10
	v_cndmask_b32_e32 v10, v28, v31, vcc
	v_mov_b32_e32 v28, 0x78
	v_cndmask_b32_e32 v34, v29, v28, vcc
	v_add_u32_e32 v28, 20, v34
	v_or_b32_e32 v30, 0x800000, v2
	v_lshlrev_b64 v[28:29], v28, -1
	v_cndmask_b32_e32 v2, v30, v2, vcc
	v_not_b32_e32 v28, v28
	v_and_b32_e32 v30, v2, v28
	v_add_u32_e32 v28, 19, v34
	v_lshrrev_b64 v[2:3], v34, v[2:3]
	v_not_b32_e32 v29, v29
	v_lshlrev_b64 v[32:33], v28, 1
	v_lshrrev_b32_e32 v28, 23, v2
	v_and_b32_e32 v31, 0, v29
	v_add3_u32 v29, v34, v10, v28
	v_bfe_u32 v28, v2, 20, 1
	v_add_u32_e32 v28, -1, v28
	v_cmp_eq_u64_e32 vcc, v[30:31], v[32:33]
	v_cndmask_b32_e32 v28, 0, v28, vcc
	v_add_u32_e32 v28, v28, v2
	v_and_b32_e32 v28, 0xfffff, v28
	v_add_co_u32_e32 v2, vcc, v28, v2
	v_add_u32_e32 v10, 6, v29
	v_addc_co_u32_e32 v3, vcc, 0, v3, vcc
	v_cmp_ne_u32_e32 vcc, 0, v10
                                        ; implicit-def: $vgpr28
	s_and_saveexec_b64 s[0:1], vcc
	s_xor_b64 s[0:1], exec, s[0:1]
; %bb.253:
	s_mov_b64 s[18:19], 0xffffff
	v_add_u32_e32 v28, 7, v29
	v_cmp_lt_u64_e32 vcc, s[18:19], v[2:3]
	v_cndmask_b32_e32 v28, v10, v28, vcc
	v_cndmask_b32_e64 v10, 0, 1, vcc
	v_lshrrev_b64 v[2:3], v10, v[2:3]
; %bb.254:
	s_andn2_saveexec_b64 s[0:1], s[0:1]
; %bb.255:
	v_bfe_u32 v28, v2, 23, 1
; %bb.256:
	s_or_b64 exec, exec, s[0:1]
	v_lshrrev_b64 v[2:3], 20, v[2:3]
	v_cmp_gt_i32_e32 vcc, 16, v28
	v_cndmask_b32_e32 v3, 0, v3, vcc
	v_cndmask_b32_e32 v2, 7, v2, vcc
	v_cmp_ne_u32_e32 vcc, 0, v28
	v_cmp_ne_u64_e64 s[0:1], 0, v[2:3]
	s_or_b64 s[0:1], vcc, s[0:1]
                                        ; implicit-def: $vgpr10
	s_and_saveexec_b64 s[18:19], s[0:1]
	s_xor_b64 s[0:1], exec, s[18:19]
; %bb.257:
	v_min_i32_e32 v3, 15, v28
	v_lshl_or_b32 v3, v3, 3, v19
	v_and_or_b32 v10, v2, 7, v3
                                        ; implicit-def: $vgpr19
; %bb.258:
	s_andn2_saveexec_b64 s[0:1], s[0:1]
; %bb.259:
	v_mov_b32_e32 v10, v19
; %bb.260:
	s_or_b64 exec, exec, s[0:1]
.LBB8_261:
	s_or_b64 exec, exec, s[16:17]
.LBB8_262:
	s_andn2_saveexec_b64 s[0:1], s[14:15]
	s_or_b64 exec, exec, s[0:1]
                                        ; implicit-def: $vgpr28
                                        ; implicit-def: $vgpr2_vgpr3
.LBB8_263:
	s_andn2_saveexec_b64 s[0:1], s[8:9]
; %bb.264:
	s_movk_i32 s8, 0x7f
	v_or_b32_sdwa v19, v28, s8 dst_sel:DWORD dst_unused:UNUSED_PAD src0_sel:BYTE_3 src1_sel:DWORD
	v_cmp_eq_u64_e32 vcc, 0, v[2:3]
	v_cndmask_b32_e32 v10, v19, v10, vcc
; %bb.265:
	s_or_b64 exec, exec, s[0:1]
	v_mul_f32_e32 v2, v23, v11
	v_max_f32_e32 v2, 0xc3e00000, v2
	v_min_f32_e32 v28, 0x43e00000, v2
	v_mov_b32_e32 v3, 0
	s_movk_i32 s0, 0x80
	v_and_b32_sdwa v19, v28, s0 dst_sel:DWORD dst_unused:UNUSED_PAD src0_sel:BYTE_3 src1_sel:DWORD
	v_and_b32_e32 v30, 0x7f800000, v28
	v_mov_b32_e32 v31, v3
	s_mov_b64 s[0:1], 0x7f800000
	v_and_b32_e32 v2, 0x7fffff, v28
	v_or_b32_e32 v11, 0x7e, v19
	v_cmp_ne_u64_e32 vcc, s[0:1], v[30:31]
	s_and_saveexec_b64 s[0:1], vcc
	s_xor_b64 s[8:9], exec, s[0:1]
	s_cbranch_execz .LBB8_279
; %bb.266:
	v_and_b32_e32 v30, 0x7fffffff, v28
	v_mov_b32_e32 v31, v3
	s_mov_b64 s[0:1], 0x43e00001
	v_cmp_gt_u64_e32 vcc, s[0:1], v[30:31]
	s_and_saveexec_b64 s[0:1], vcc
	s_xor_b64 s[14:15], exec, s[0:1]
	s_cbranch_execz .LBB8_278
; %bb.267:
	v_cmp_ne_u32_e32 vcc, 0, v28
	v_mov_b32_e32 v11, 0
	s_and_saveexec_b64 s[16:17], vcc
	s_cbranch_execz .LBB8_277
; %bb.268:
	v_bfe_u32 v11, v28, 23, 8
	s_movk_i32 s0, 0x7a
	v_sub_u32_e32 v29, 0x79, v11
	v_cmp_gt_u32_e32 vcc, s0, v11
	v_add_u32_e32 v28, 0xffffff81, v11
	v_cndmask_b32_e32 v29, 0, v29, vcc
	v_mov_b32_e32 v31, 0xffffff82
	v_cmp_eq_u32_e32 vcc, 0, v11
	v_cndmask_b32_e32 v11, v28, v31, vcc
	v_mov_b32_e32 v28, 0x78
	v_cndmask_b32_e32 v34, v29, v28, vcc
	v_add_u32_e32 v28, 20, v34
	v_or_b32_e32 v30, 0x800000, v2
	v_lshlrev_b64 v[28:29], v28, -1
	v_cndmask_b32_e32 v2, v30, v2, vcc
	v_not_b32_e32 v28, v28
	v_and_b32_e32 v30, v2, v28
	v_add_u32_e32 v28, 19, v34
	v_lshrrev_b64 v[2:3], v34, v[2:3]
	v_not_b32_e32 v29, v29
	v_lshlrev_b64 v[32:33], v28, 1
	v_lshrrev_b32_e32 v28, 23, v2
	v_and_b32_e32 v31, 0, v29
	v_add3_u32 v29, v34, v11, v28
	v_bfe_u32 v28, v2, 20, 1
	v_add_u32_e32 v28, -1, v28
	v_cmp_eq_u64_e32 vcc, v[30:31], v[32:33]
	v_cndmask_b32_e32 v28, 0, v28, vcc
	v_add_u32_e32 v28, v28, v2
	v_and_b32_e32 v28, 0xfffff, v28
	v_add_co_u32_e32 v2, vcc, v28, v2
	v_add_u32_e32 v11, 6, v29
	v_addc_co_u32_e32 v3, vcc, 0, v3, vcc
	v_cmp_ne_u32_e32 vcc, 0, v11
                                        ; implicit-def: $vgpr28
	s_and_saveexec_b64 s[0:1], vcc
	s_xor_b64 s[0:1], exec, s[0:1]
; %bb.269:
	s_mov_b64 s[18:19], 0xffffff
	v_add_u32_e32 v28, 7, v29
	v_cmp_lt_u64_e32 vcc, s[18:19], v[2:3]
	v_cndmask_b32_e32 v28, v11, v28, vcc
	v_cndmask_b32_e64 v11, 0, 1, vcc
	v_lshrrev_b64 v[2:3], v11, v[2:3]
; %bb.270:
	s_andn2_saveexec_b64 s[0:1], s[0:1]
; %bb.271:
	v_bfe_u32 v28, v2, 23, 1
; %bb.272:
	s_or_b64 exec, exec, s[0:1]
	v_lshrrev_b64 v[2:3], 20, v[2:3]
	v_cmp_gt_i32_e32 vcc, 16, v28
	v_cndmask_b32_e32 v3, 0, v3, vcc
	v_cndmask_b32_e32 v2, 7, v2, vcc
	v_cmp_ne_u32_e32 vcc, 0, v28
	v_cmp_ne_u64_e64 s[0:1], 0, v[2:3]
	s_or_b64 s[0:1], vcc, s[0:1]
                                        ; implicit-def: $vgpr11
	s_and_saveexec_b64 s[18:19], s[0:1]
	s_xor_b64 s[0:1], exec, s[18:19]
; %bb.273:
	v_min_i32_e32 v3, 15, v28
	v_lshl_or_b32 v3, v3, 3, v19
	v_and_or_b32 v11, v2, 7, v3
                                        ; implicit-def: $vgpr19
; %bb.274:
	s_andn2_saveexec_b64 s[0:1], s[0:1]
; %bb.275:
	v_mov_b32_e32 v11, v19
; %bb.276:
	s_or_b64 exec, exec, s[0:1]
.LBB8_277:
	s_or_b64 exec, exec, s[16:17]
.LBB8_278:
	s_andn2_saveexec_b64 s[0:1], s[14:15]
	s_or_b64 exec, exec, s[0:1]
                                        ; implicit-def: $vgpr28
                                        ; implicit-def: $vgpr2_vgpr3
.LBB8_279:
	s_andn2_saveexec_b64 s[0:1], s[8:9]
; %bb.280:
	s_movk_i32 s8, 0x7f
	v_or_b32_sdwa v19, v28, s8 dst_sel:DWORD dst_unused:UNUSED_PAD src0_sel:BYTE_3 src1_sel:DWORD
	v_cmp_eq_u64_e32 vcc, 0, v[2:3]
	v_cndmask_b32_e32 v11, v19, v11, vcc
; %bb.281:
	s_or_b64 exec, exec, s[0:1]
	v_mul_f32_e32 v2, v23, v27
	v_max_f32_e32 v2, 0xc3e00000, v2
	v_min_f32_e32 v28, 0x43e00000, v2
	v_mov_b32_e32 v3, 0
	s_movk_i32 s0, 0x80
	v_and_b32_sdwa v27, v28, s0 dst_sel:DWORD dst_unused:UNUSED_PAD src0_sel:BYTE_3 src1_sel:DWORD
	v_and_b32_e32 v30, 0x7f800000, v28
	v_mov_b32_e32 v31, v3
	s_mov_b64 s[0:1], 0x7f800000
	v_and_b32_e32 v2, 0x7fffff, v28
	v_or_b32_e32 v19, 0x7e, v27
	v_cmp_ne_u64_e32 vcc, s[0:1], v[30:31]
	s_and_saveexec_b64 s[0:1], vcc
	s_xor_b64 s[8:9], exec, s[0:1]
	s_cbranch_execz .LBB8_295
; %bb.282:
	v_and_b32_e32 v30, 0x7fffffff, v28
	v_mov_b32_e32 v31, v3
	s_mov_b64 s[0:1], 0x43e00001
	v_cmp_gt_u64_e32 vcc, s[0:1], v[30:31]
	s_and_saveexec_b64 s[0:1], vcc
	s_xor_b64 s[14:15], exec, s[0:1]
	s_cbranch_execz .LBB8_294
; %bb.283:
	v_cmp_ne_u32_e32 vcc, 0, v28
	v_mov_b32_e32 v19, 0
	s_and_saveexec_b64 s[16:17], vcc
	s_cbranch_execz .LBB8_293
; %bb.284:
	v_bfe_u32 v19, v28, 23, 8
	s_movk_i32 s0, 0x7a
	v_sub_u32_e32 v29, 0x79, v19
	v_cmp_gt_u32_e32 vcc, s0, v19
	v_add_u32_e32 v28, 0xffffff81, v19
	v_cndmask_b32_e32 v29, 0, v29, vcc
	v_mov_b32_e32 v31, 0xffffff82
	v_cmp_eq_u32_e32 vcc, 0, v19
	v_cndmask_b32_e32 v19, v28, v31, vcc
	v_mov_b32_e32 v28, 0x78
	v_cndmask_b32_e32 v34, v29, v28, vcc
	v_add_u32_e32 v28, 20, v34
	v_or_b32_e32 v30, 0x800000, v2
	v_lshlrev_b64 v[28:29], v28, -1
	v_cndmask_b32_e32 v2, v30, v2, vcc
	v_not_b32_e32 v28, v28
	v_and_b32_e32 v30, v2, v28
	v_add_u32_e32 v28, 19, v34
	v_lshrrev_b64 v[2:3], v34, v[2:3]
	v_not_b32_e32 v29, v29
	v_lshlrev_b64 v[32:33], v28, 1
	v_lshrrev_b32_e32 v28, 23, v2
	v_and_b32_e32 v31, 0, v29
	v_add3_u32 v29, v34, v19, v28
	v_bfe_u32 v28, v2, 20, 1
	v_add_u32_e32 v28, -1, v28
	v_cmp_eq_u64_e32 vcc, v[30:31], v[32:33]
	v_cndmask_b32_e32 v28, 0, v28, vcc
	v_add_u32_e32 v28, v28, v2
	v_and_b32_e32 v28, 0xfffff, v28
	v_add_co_u32_e32 v2, vcc, v28, v2
	v_add_u32_e32 v19, 6, v29
	v_addc_co_u32_e32 v3, vcc, 0, v3, vcc
	v_cmp_ne_u32_e32 vcc, 0, v19
                                        ; implicit-def: $vgpr28
	s_and_saveexec_b64 s[0:1], vcc
	s_xor_b64 s[0:1], exec, s[0:1]
; %bb.285:
	s_mov_b64 s[18:19], 0xffffff
	v_add_u32_e32 v28, 7, v29
	v_cmp_lt_u64_e32 vcc, s[18:19], v[2:3]
	v_cndmask_b32_e32 v28, v19, v28, vcc
	v_cndmask_b32_e64 v19, 0, 1, vcc
	v_lshrrev_b64 v[2:3], v19, v[2:3]
; %bb.286:
	s_andn2_saveexec_b64 s[0:1], s[0:1]
; %bb.287:
	v_bfe_u32 v28, v2, 23, 1
; %bb.288:
	s_or_b64 exec, exec, s[0:1]
	v_lshrrev_b64 v[2:3], 20, v[2:3]
	v_cmp_gt_i32_e32 vcc, 16, v28
	v_cndmask_b32_e32 v3, 0, v3, vcc
	v_cndmask_b32_e32 v2, 7, v2, vcc
	v_cmp_ne_u32_e32 vcc, 0, v28
	v_cmp_ne_u64_e64 s[0:1], 0, v[2:3]
	s_or_b64 s[0:1], vcc, s[0:1]
                                        ; implicit-def: $vgpr19
	s_and_saveexec_b64 s[18:19], s[0:1]
	s_xor_b64 s[0:1], exec, s[18:19]
; %bb.289:
	v_min_i32_e32 v3, 15, v28
	v_lshl_or_b32 v3, v3, 3, v27
	v_and_or_b32 v19, v2, 7, v3
                                        ; implicit-def: $vgpr27
; %bb.290:
	s_andn2_saveexec_b64 s[0:1], s[0:1]
; %bb.291:
	v_mov_b32_e32 v19, v27
; %bb.292:
	s_or_b64 exec, exec, s[0:1]
.LBB8_293:
	s_or_b64 exec, exec, s[16:17]
.LBB8_294:
	s_andn2_saveexec_b64 s[0:1], s[14:15]
	s_or_b64 exec, exec, s[0:1]
                                        ; implicit-def: $vgpr28
                                        ; implicit-def: $vgpr2_vgpr3
.LBB8_295:
	s_andn2_saveexec_b64 s[0:1], s[8:9]
; %bb.296:
	s_movk_i32 s8, 0x7f
	v_or_b32_sdwa v27, v28, s8 dst_sel:DWORD dst_unused:UNUSED_PAD src0_sel:BYTE_3 src1_sel:DWORD
	v_cmp_eq_u64_e32 vcc, 0, v[2:3]
	v_cndmask_b32_e32 v19, v27, v19, vcc
; %bb.297:
	s_or_b64 exec, exec, s[0:1]
	v_mul_f32_e32 v2, v23, v26
	v_max_f32_e32 v2, 0xc3e00000, v2
	v_min_f32_e32 v28, 0x43e00000, v2
	v_mov_b32_e32 v3, 0
	s_movk_i32 s0, 0x80
	v_and_b32_sdwa v27, v28, s0 dst_sel:DWORD dst_unused:UNUSED_PAD src0_sel:BYTE_3 src1_sel:DWORD
	v_and_b32_e32 v30, 0x7f800000, v28
	v_mov_b32_e32 v31, v3
	s_mov_b64 s[0:1], 0x7f800000
	v_and_b32_e32 v2, 0x7fffff, v28
	v_or_b32_e32 v26, 0x7e, v27
	v_cmp_ne_u64_e32 vcc, s[0:1], v[30:31]
	s_and_saveexec_b64 s[0:1], vcc
	s_xor_b64 s[8:9], exec, s[0:1]
	s_cbranch_execz .LBB8_311
; %bb.298:
	v_and_b32_e32 v30, 0x7fffffff, v28
	v_mov_b32_e32 v31, v3
	s_mov_b64 s[0:1], 0x43e00001
	v_cmp_gt_u64_e32 vcc, s[0:1], v[30:31]
	s_and_saveexec_b64 s[0:1], vcc
	s_xor_b64 s[14:15], exec, s[0:1]
	s_cbranch_execz .LBB8_310
; %bb.299:
	v_cmp_ne_u32_e32 vcc, 0, v28
	v_mov_b32_e32 v26, 0
	s_and_saveexec_b64 s[16:17], vcc
	s_cbranch_execz .LBB8_309
; %bb.300:
	v_bfe_u32 v26, v28, 23, 8
	s_movk_i32 s0, 0x7a
	v_sub_u32_e32 v29, 0x79, v26
	v_cmp_gt_u32_e32 vcc, s0, v26
	v_add_u32_e32 v28, 0xffffff81, v26
	v_cndmask_b32_e32 v29, 0, v29, vcc
	v_mov_b32_e32 v31, 0xffffff82
	v_cmp_eq_u32_e32 vcc, 0, v26
	v_cndmask_b32_e32 v26, v28, v31, vcc
	v_mov_b32_e32 v28, 0x78
	v_cndmask_b32_e32 v34, v29, v28, vcc
	v_add_u32_e32 v28, 20, v34
	v_or_b32_e32 v30, 0x800000, v2
	v_lshlrev_b64 v[28:29], v28, -1
	v_cndmask_b32_e32 v2, v30, v2, vcc
	v_not_b32_e32 v28, v28
	v_and_b32_e32 v30, v2, v28
	v_add_u32_e32 v28, 19, v34
	v_lshrrev_b64 v[2:3], v34, v[2:3]
	v_not_b32_e32 v29, v29
	v_lshlrev_b64 v[32:33], v28, 1
	v_lshrrev_b32_e32 v28, 23, v2
	v_and_b32_e32 v31, 0, v29
	v_add3_u32 v29, v34, v26, v28
	v_bfe_u32 v28, v2, 20, 1
	v_add_u32_e32 v28, -1, v28
	v_cmp_eq_u64_e32 vcc, v[30:31], v[32:33]
	v_cndmask_b32_e32 v28, 0, v28, vcc
	v_add_u32_e32 v28, v28, v2
	v_and_b32_e32 v28, 0xfffff, v28
	v_add_co_u32_e32 v2, vcc, v28, v2
	v_add_u32_e32 v26, 6, v29
	v_addc_co_u32_e32 v3, vcc, 0, v3, vcc
	v_cmp_ne_u32_e32 vcc, 0, v26
                                        ; implicit-def: $vgpr28
	s_and_saveexec_b64 s[0:1], vcc
	s_xor_b64 s[0:1], exec, s[0:1]
; %bb.301:
	s_mov_b64 s[18:19], 0xffffff
	v_add_u32_e32 v28, 7, v29
	v_cmp_lt_u64_e32 vcc, s[18:19], v[2:3]
	v_cndmask_b32_e32 v28, v26, v28, vcc
	v_cndmask_b32_e64 v26, 0, 1, vcc
	v_lshrrev_b64 v[2:3], v26, v[2:3]
; %bb.302:
	s_andn2_saveexec_b64 s[0:1], s[0:1]
; %bb.303:
	v_bfe_u32 v28, v2, 23, 1
; %bb.304:
	s_or_b64 exec, exec, s[0:1]
	v_lshrrev_b64 v[2:3], 20, v[2:3]
	v_cmp_gt_i32_e32 vcc, 16, v28
	v_cndmask_b32_e32 v3, 0, v3, vcc
	v_cndmask_b32_e32 v2, 7, v2, vcc
	v_cmp_ne_u32_e32 vcc, 0, v28
	v_cmp_ne_u64_e64 s[0:1], 0, v[2:3]
	s_or_b64 s[0:1], vcc, s[0:1]
                                        ; implicit-def: $vgpr26
	s_and_saveexec_b64 s[18:19], s[0:1]
	s_xor_b64 s[0:1], exec, s[18:19]
; %bb.305:
	v_min_i32_e32 v3, 15, v28
	v_lshl_or_b32 v3, v3, 3, v27
	v_and_or_b32 v26, v2, 7, v3
                                        ; implicit-def: $vgpr27
; %bb.306:
	s_andn2_saveexec_b64 s[0:1], s[0:1]
; %bb.307:
	v_mov_b32_e32 v26, v27
; %bb.308:
	s_or_b64 exec, exec, s[0:1]
.LBB8_309:
	s_or_b64 exec, exec, s[16:17]
.LBB8_310:
	s_andn2_saveexec_b64 s[0:1], s[14:15]
	s_or_b64 exec, exec, s[0:1]
                                        ; implicit-def: $vgpr28
                                        ; implicit-def: $vgpr2_vgpr3
.LBB8_311:
	s_andn2_saveexec_b64 s[0:1], s[8:9]
; %bb.312:
	s_movk_i32 s8, 0x7f
	v_or_b32_sdwa v27, v28, s8 dst_sel:DWORD dst_unused:UNUSED_PAD src0_sel:BYTE_3 src1_sel:DWORD
	v_cmp_eq_u64_e32 vcc, 0, v[2:3]
	v_cndmask_b32_e32 v26, v27, v26, vcc
; %bb.313:
	s_or_b64 exec, exec, s[0:1]
	v_mul_f32_e32 v2, v23, v24
	v_max_f32_e32 v2, 0xc3e00000, v2
	v_min_f32_e32 v28, 0x43e00000, v2
	v_mov_b32_e32 v3, 0
	s_movk_i32 s0, 0x80
	v_and_b32_sdwa v27, v28, s0 dst_sel:DWORD dst_unused:UNUSED_PAD src0_sel:BYTE_3 src1_sel:DWORD
	v_and_b32_e32 v30, 0x7f800000, v28
	v_mov_b32_e32 v31, v3
	s_mov_b64 s[0:1], 0x7f800000
	v_and_b32_e32 v2, 0x7fffff, v28
	v_or_b32_e32 v24, 0x7e, v27
	v_cmp_ne_u64_e32 vcc, s[0:1], v[30:31]
	s_and_saveexec_b64 s[0:1], vcc
	s_xor_b64 s[8:9], exec, s[0:1]
	s_cbranch_execz .LBB8_327
; %bb.314:
	v_and_b32_e32 v30, 0x7fffffff, v28
	v_mov_b32_e32 v31, v3
	s_mov_b64 s[0:1], 0x43e00001
	v_cmp_gt_u64_e32 vcc, s[0:1], v[30:31]
	s_and_saveexec_b64 s[0:1], vcc
	s_xor_b64 s[14:15], exec, s[0:1]
	s_cbranch_execz .LBB8_326
; %bb.315:
	v_cmp_ne_u32_e32 vcc, 0, v28
	v_mov_b32_e32 v24, 0
	s_and_saveexec_b64 s[16:17], vcc
	s_cbranch_execz .LBB8_325
; %bb.316:
	v_bfe_u32 v24, v28, 23, 8
	s_movk_i32 s0, 0x7a
	v_sub_u32_e32 v29, 0x79, v24
	v_cmp_gt_u32_e32 vcc, s0, v24
	v_add_u32_e32 v28, 0xffffff81, v24
	v_cndmask_b32_e32 v29, 0, v29, vcc
	v_mov_b32_e32 v31, 0xffffff82
	v_cmp_eq_u32_e32 vcc, 0, v24
	v_cndmask_b32_e32 v24, v28, v31, vcc
	v_mov_b32_e32 v28, 0x78
	v_cndmask_b32_e32 v34, v29, v28, vcc
	v_add_u32_e32 v28, 20, v34
	v_or_b32_e32 v30, 0x800000, v2
	v_lshlrev_b64 v[28:29], v28, -1
	v_cndmask_b32_e32 v2, v30, v2, vcc
	v_not_b32_e32 v28, v28
	v_and_b32_e32 v30, v2, v28
	v_add_u32_e32 v28, 19, v34
	v_lshrrev_b64 v[2:3], v34, v[2:3]
	v_not_b32_e32 v29, v29
	v_lshlrev_b64 v[32:33], v28, 1
	v_lshrrev_b32_e32 v28, 23, v2
	v_and_b32_e32 v31, 0, v29
	v_add3_u32 v29, v34, v24, v28
	v_bfe_u32 v28, v2, 20, 1
	v_add_u32_e32 v28, -1, v28
	v_cmp_eq_u64_e32 vcc, v[30:31], v[32:33]
	v_cndmask_b32_e32 v28, 0, v28, vcc
	v_add_u32_e32 v28, v28, v2
	v_and_b32_e32 v28, 0xfffff, v28
	v_add_co_u32_e32 v2, vcc, v28, v2
	v_add_u32_e32 v24, 6, v29
	v_addc_co_u32_e32 v3, vcc, 0, v3, vcc
	v_cmp_ne_u32_e32 vcc, 0, v24
                                        ; implicit-def: $vgpr28
	s_and_saveexec_b64 s[0:1], vcc
	s_xor_b64 s[0:1], exec, s[0:1]
; %bb.317:
	s_mov_b64 s[18:19], 0xffffff
	v_add_u32_e32 v28, 7, v29
	v_cmp_lt_u64_e32 vcc, s[18:19], v[2:3]
	v_cndmask_b32_e32 v28, v24, v28, vcc
	v_cndmask_b32_e64 v24, 0, 1, vcc
	v_lshrrev_b64 v[2:3], v24, v[2:3]
; %bb.318:
	s_andn2_saveexec_b64 s[0:1], s[0:1]
; %bb.319:
	v_bfe_u32 v28, v2, 23, 1
; %bb.320:
	s_or_b64 exec, exec, s[0:1]
	v_lshrrev_b64 v[2:3], 20, v[2:3]
	v_cmp_gt_i32_e32 vcc, 16, v28
	v_cndmask_b32_e32 v3, 0, v3, vcc
	v_cndmask_b32_e32 v2, 7, v2, vcc
	v_cmp_ne_u32_e32 vcc, 0, v28
	v_cmp_ne_u64_e64 s[0:1], 0, v[2:3]
	s_or_b64 s[0:1], vcc, s[0:1]
                                        ; implicit-def: $vgpr24
	s_and_saveexec_b64 s[18:19], s[0:1]
	s_xor_b64 s[0:1], exec, s[18:19]
; %bb.321:
	v_min_i32_e32 v3, 15, v28
	v_lshl_or_b32 v3, v3, 3, v27
	v_and_or_b32 v24, v2, 7, v3
                                        ; implicit-def: $vgpr27
; %bb.322:
	s_andn2_saveexec_b64 s[0:1], s[0:1]
; %bb.323:
	v_mov_b32_e32 v24, v27
; %bb.324:
	s_or_b64 exec, exec, s[0:1]
.LBB8_325:
	s_or_b64 exec, exec, s[16:17]
.LBB8_326:
	s_andn2_saveexec_b64 s[0:1], s[14:15]
	s_or_b64 exec, exec, s[0:1]
                                        ; implicit-def: $vgpr28
                                        ; implicit-def: $vgpr2_vgpr3
.LBB8_327:
	s_andn2_saveexec_b64 s[0:1], s[8:9]
; %bb.328:
	s_movk_i32 s8, 0x7f
	v_or_b32_sdwa v27, v28, s8 dst_sel:DWORD dst_unused:UNUSED_PAD src0_sel:BYTE_3 src1_sel:DWORD
	v_cmp_eq_u64_e32 vcc, 0, v[2:3]
	v_cndmask_b32_e32 v24, v27, v24, vcc
; %bb.329:
	s_or_b64 exec, exec, s[0:1]
	v_mul_f32_e32 v2, v23, v22
	v_max_f32_e32 v2, 0xc3e00000, v2
	v_min_f32_e32 v27, 0x43e00000, v2
	v_mov_b32_e32 v3, 0
	s_movk_i32 s0, 0x80
	v_and_b32_sdwa v22, v27, s0 dst_sel:DWORD dst_unused:UNUSED_PAD src0_sel:BYTE_3 src1_sel:DWORD
	v_and_b32_e32 v28, 0x7f800000, v27
	v_mov_b32_e32 v29, v3
	s_mov_b64 s[0:1], 0x7f800000
	v_and_b32_e32 v2, 0x7fffff, v27
	v_or_b32_e32 v23, 0x7e, v22
	v_cmp_ne_u64_e32 vcc, s[0:1], v[28:29]
	s_and_saveexec_b64 s[0:1], vcc
	s_xor_b64 s[8:9], exec, s[0:1]
	s_cbranch_execz .LBB8_343
; %bb.330:
	v_and_b32_e32 v28, 0x7fffffff, v27
	v_mov_b32_e32 v29, v3
	s_mov_b64 s[0:1], 0x43e00001
	v_cmp_gt_u64_e32 vcc, s[0:1], v[28:29]
	s_and_saveexec_b64 s[0:1], vcc
	s_xor_b64 s[14:15], exec, s[0:1]
	s_cbranch_execz .LBB8_342
; %bb.331:
	v_cmp_ne_u32_e32 vcc, 0, v27
	v_mov_b32_e32 v23, 0
	s_and_saveexec_b64 s[16:17], vcc
	s_cbranch_execz .LBB8_341
; %bb.332:
	v_bfe_u32 v23, v27, 23, 8
	s_movk_i32 s0, 0x7a
	v_sub_u32_e32 v28, 0x79, v23
	v_cmp_gt_u32_e32 vcc, s0, v23
	v_add_u32_e32 v27, 0xffffff81, v23
	v_cndmask_b32_e32 v28, 0, v28, vcc
	v_mov_b32_e32 v30, 0xffffff82
	v_cmp_eq_u32_e32 vcc, 0, v23
	v_cndmask_b32_e32 v23, v27, v30, vcc
	v_mov_b32_e32 v27, 0x78
	v_cndmask_b32_e32 v27, v28, v27, vcc
	v_or_b32_e32 v29, 0x800000, v2
	v_add_u32_e32 v28, 20, v27
	v_cndmask_b32_e32 v2, v29, v2, vcc
	v_lshlrev_b64 v[28:29], v28, -1
	v_not_b32_e32 v28, v28
	v_and_b32_e32 v30, v2, v28
	v_add_u32_e32 v28, 19, v27
	v_lshrrev_b64 v[2:3], v27, v[2:3]
	v_not_b32_e32 v29, v29
	v_lshlrev_b64 v[32:33], v28, 1
	v_lshrrev_b32_e32 v28, 23, v2
	v_and_b32_e32 v31, 0, v29
	v_add3_u32 v28, v27, v23, v28
	v_bfe_u32 v27, v2, 20, 1
	v_add_u32_e32 v27, -1, v27
	v_cmp_eq_u64_e32 vcc, v[30:31], v[32:33]
	v_cndmask_b32_e32 v27, 0, v27, vcc
	v_add_u32_e32 v27, v27, v2
	v_and_b32_e32 v27, 0xfffff, v27
	v_add_co_u32_e32 v2, vcc, v27, v2
	v_add_u32_e32 v23, 6, v28
	v_addc_co_u32_e32 v3, vcc, 0, v3, vcc
	v_cmp_ne_u32_e32 vcc, 0, v23
                                        ; implicit-def: $vgpr27
	s_and_saveexec_b64 s[0:1], vcc
	s_xor_b64 s[0:1], exec, s[0:1]
; %bb.333:
	s_mov_b64 s[18:19], 0xffffff
	v_add_u32_e32 v27, 7, v28
	v_cmp_lt_u64_e32 vcc, s[18:19], v[2:3]
	v_cndmask_b32_e32 v27, v23, v27, vcc
	v_cndmask_b32_e64 v23, 0, 1, vcc
	v_lshrrev_b64 v[2:3], v23, v[2:3]
; %bb.334:
	s_andn2_saveexec_b64 s[0:1], s[0:1]
; %bb.335:
	v_bfe_u32 v27, v2, 23, 1
; %bb.336:
	s_or_b64 exec, exec, s[0:1]
	v_lshrrev_b64 v[2:3], 20, v[2:3]
	v_cmp_gt_i32_e32 vcc, 16, v27
	v_cndmask_b32_e32 v3, 0, v3, vcc
	v_cndmask_b32_e32 v2, 7, v2, vcc
	v_cmp_ne_u32_e32 vcc, 0, v27
	v_cmp_ne_u64_e64 s[0:1], 0, v[2:3]
	s_or_b64 s[0:1], vcc, s[0:1]
                                        ; implicit-def: $vgpr23
	s_and_saveexec_b64 s[18:19], s[0:1]
	s_xor_b64 s[0:1], exec, s[18:19]
; %bb.337:
	v_min_i32_e32 v3, 15, v27
	v_lshl_or_b32 v3, v3, 3, v22
	v_and_or_b32 v23, v2, 7, v3
                                        ; implicit-def: $vgpr22
; %bb.338:
	s_andn2_saveexec_b64 s[0:1], s[0:1]
; %bb.339:
	v_mov_b32_e32 v23, v22
; %bb.340:
	s_or_b64 exec, exec, s[0:1]
.LBB8_341:
	s_or_b64 exec, exec, s[16:17]
.LBB8_342:
	s_andn2_saveexec_b64 s[0:1], s[14:15]
	s_or_b64 exec, exec, s[0:1]
                                        ; implicit-def: $vgpr27
                                        ; implicit-def: $vgpr2_vgpr3
.LBB8_343:
	s_andn2_saveexec_b64 s[0:1], s[8:9]
; %bb.344:
	s_movk_i32 s8, 0x7f
	v_or_b32_sdwa v22, v27, s8 dst_sel:DWORD dst_unused:UNUSED_PAD src0_sel:BYTE_3 src1_sel:DWORD
	v_cmp_eq_u64_e32 vcc, 0, v[2:3]
	v_cndmask_b32_e32 v23, v22, v23, vcc
; %bb.345:
	s_or_b64 exec, exec, s[0:1]
	v_lshlrev_b64 v[2:3], 3, v[14:15]
	v_mov_b32_e32 v14, 0x240
	v_mad_i64_i32 v[14:15], s[0:1], s20, v14, v[16:17]
	v_add_co_u32_e32 v2, vcc, v14, v2
	v_lshlrev_b16_e32 v5, 8, v5
	v_addc_co_u32_e32 v3, vcc, v15, v3, vcc
	v_or_b32_sdwa v4, v4, v5 dst_sel:DWORD dst_unused:UNUSED_PAD src0_sel:BYTE_0 src1_sel:DWORD
	v_lshlrev_b16_e32 v5, 8, v7
	v_add_co_u32_e32 v14, vcc, v12, v46
	v_lshlrev_b16_e32 v9, 8, v9
	v_or_b32_sdwa v5, v6, v5 dst_sel:WORD_1 dst_unused:UNUSED_PAD src0_sel:BYTE_0 src1_sel:DWORD
	v_addc_co_u32_e32 v15, vcc, 0, v13, vcc
	v_lshlrev_b16_e32 v12, 8, v26
	v_lshlrev_b16_e32 v13, 8, v23
	v_or_b32_sdwa v8, v8, v9 dst_sel:DWORD dst_unused:UNUSED_PAD src0_sel:BYTE_0 src1_sel:DWORD
	v_lshlrev_b16_e32 v9, 8, v11
	v_or_b32_sdwa v11, v4, v5 dst_sel:DWORD dst_unused:UNUSED_PAD src0_sel:WORD_0 src1_sel:DWORD
	v_lshlrev_b16_e32 v1, 8, v1
	v_lshlrev_b16_e32 v4, 8, v18
	v_or_b32_sdwa v12, v19, v12 dst_sel:DWORD dst_unused:UNUSED_PAD src0_sel:BYTE_0 src1_sel:DWORD
	v_or_b32_sdwa v13, v24, v13 dst_sel:WORD_1 dst_unused:UNUSED_PAD src0_sel:BYTE_0 src1_sel:DWORD
	v_or_b32_sdwa v9, v10, v9 dst_sel:WORD_1 dst_unused:UNUSED_PAD src0_sel:BYTE_0 src1_sel:DWORD
	v_or_b32_sdwa v1, v21, v1 dst_sel:DWORD dst_unused:UNUSED_PAD src0_sel:BYTE_0 src1_sel:DWORD
	v_or_b32_sdwa v4, v25, v4 dst_sel:WORD_1 dst_unused:UNUSED_PAD src0_sel:BYTE_0 src1_sel:DWORD
	v_and_b32_e32 v0, 3, v0
	v_or_b32_sdwa v13, v12, v13 dst_sel:DWORD dst_unused:UNUSED_PAD src0_sel:WORD_0 src1_sel:DWORD
	v_or_b32_sdwa v12, v8, v9 dst_sel:DWORD dst_unused:UNUSED_PAD src0_sel:WORD_0 src1_sel:DWORD
	;; [unrolled: 1-line block ×3, first 2 shown]
	v_cmp_eq_u32_e32 vcc, 0, v0
	global_store_dwordx4 v[14:15], v[10:13], off
	s_and_saveexec_b64 s[0:1], vcc
	s_cbranch_execz .LBB8_347
; %bb.346:
	v_add_f32_e32 v1, 0x42fe0000, v20
	v_min_f32_e32 v1, 0x437f0000, v1
	v_max_f32_e32 v1, 0, v1
	v_cvt_i32_f32_e32 v4, v1
	v_lshrrev_b32_e32 v0, 2, v47
	v_add_co_u32_e32 v0, vcc, v2, v0
	v_addc_co_u32_e32 v1, vcc, 0, v3, vcc
	global_store_byte v[0:1], v4, off
.LBB8_347:
	s_or_b64 exec, exec, s[0:1]
	v_cmp_eq_u32_e32 vcc, 0, v47
	s_and_saveexec_b64 s[0:1], vcc
	s_cbranch_execz .LBB8_349
; %bb.348:
	v_mov_b32_e32 v0, 0
	global_store_byte v[2:3], v0, off offset:7
.LBB8_349:
	s_or_b64 exec, exec, s[0:1]
                                        ; implicit-def: $vgpr46
                                        ; implicit-def: $vgpr29
                                        ; implicit-def: $vgpr34
                                        ; implicit-def: $vgpr35
                                        ; implicit-def: $vgpr36
                                        ; implicit-def: $vgpr37
                                        ; implicit-def: $vgpr38
                                        ; implicit-def: $vgpr39
                                        ; implicit-def: $vgpr40
                                        ; implicit-def: $vgpr41
                                        ; implicit-def: $vgpr42
                                        ; implicit-def: $vgpr43
                                        ; implicit-def: $vgpr44
                                        ; implicit-def: $vgpr45
                                        ; implicit-def: $vgpr48
                                        ; implicit-def: $vgpr49
                                        ; implicit-def: $vgpr50
                                        ; implicit-def: $vgpr12_vgpr13
.LBB8_350:
	s_andn2_saveexec_b64 s[0:1], s[2:3]
                                        ; implicit-def: $vgpr11
	s_cbranch_execz .LBB8_352
; %bb.351:
	v_lshlrev_b32_e32 v0, 1, v46
	v_add_co_u32_e32 v4, vcc, v12, v0
	s_mov_b32 s0, 0x7060302
	v_addc_co_u32_e32 v5, vcc, 0, v13, vcc
	v_perm_b32 v3, v40, v39, s0
	v_perm_b32 v2, v38, v37, s0
	;; [unrolled: 1-line block ×4, first 2 shown]
	global_store_dwordx4 v[4:5], v[0:3], off offset:-448
	s_nop 0
	v_perm_b32 v3, v50, v49, s0
	v_perm_b32 v2, v48, v45, s0
	;; [unrolled: 1-line block ×4, first 2 shown]
	global_store_dwordx4 v[4:5], v[0:3], off offset:-432
.LBB8_352:
	s_or_b64 exec, exec, s[10:11]
                                        ; implicit-def: $vgpr10
                                        ; implicit-def: $vgpr44
                                        ; implicit-def: $vgpr46
                                        ; implicit-def: $vgpr12_vgpr13_vgpr14_vgpr15_vgpr16_vgpr17_vgpr18_vgpr19_vgpr20_vgpr21_vgpr22_vgpr23_vgpr24_vgpr25_vgpr26_vgpr27
	s_andn2_saveexec_b64 s[0:1], s[12:13]
	s_cbranch_execz .LBB8_17
.LBB8_353:
	s_mov_b32 s2, 0x7f800000
	v_and_b32_e32 v0, 0x7f800000, v12
	v_cmp_ne_u32_e32 vcc, s2, v0
                                        ; implicit-def: $vgpr0
	s_and_saveexec_b64 s[2:3], vcc
	s_xor_b64 s[2:3], exec, s[2:3]
; %bb.354:
	v_bfe_u32 v0, v12, 16, 1
	s_movk_i32 s8, 0x7fff
	v_add3_u32 v0, v12, v0, s8
; %bb.355:
	s_andn2_saveexec_b64 s[2:3], s[2:3]
; %bb.356:
	v_mov_b32_e32 v0, 0
	v_or_b32_e32 v1, 0x10000, v12
	v_cmp_eq_u32_sdwa vcc, v12, v0 src0_sel:WORD_0 src1_sel:DWORD
	v_cndmask_b32_e32 v0, v1, v12, vcc
; %bb.357:
	s_or_b64 exec, exec, s[2:3]
	s_mov_b32 s2, 0x7f800000
	v_and_b32_e32 v1, 0x7f800000, v13
	v_cmp_ne_u32_e32 vcc, s2, v1
                                        ; implicit-def: $vgpr1
	s_and_saveexec_b64 s[2:3], vcc
	s_xor_b64 s[2:3], exec, s[2:3]
; %bb.358:
	v_bfe_u32 v1, v13, 16, 1
	s_movk_i32 s8, 0x7fff
	v_add3_u32 v1, v13, v1, s8
; %bb.359:
	s_andn2_saveexec_b64 s[2:3], s[2:3]
; %bb.360:
	v_mov_b32_e32 v1, 0
	v_or_b32_e32 v2, 0x10000, v13
	v_cmp_eq_u32_sdwa vcc, v13, v1 src0_sel:WORD_0 src1_sel:DWORD
	v_cndmask_b32_e32 v1, v2, v13, vcc
; %bb.361:
	s_or_b64 exec, exec, s[2:3]
	s_mov_b32 s2, 0x7f800000
	v_and_b32_e32 v2, 0x7f800000, v14
	v_cmp_ne_u32_e32 vcc, s2, v2
                                        ; implicit-def: $vgpr2
	s_and_saveexec_b64 s[2:3], vcc
	s_xor_b64 s[2:3], exec, s[2:3]
; %bb.362:
	v_bfe_u32 v2, v14, 16, 1
	s_movk_i32 s8, 0x7fff
	v_add3_u32 v2, v14, v2, s8
; %bb.363:
	s_andn2_saveexec_b64 s[2:3], s[2:3]
; %bb.364:
	v_mov_b32_e32 v2, 0
	v_or_b32_e32 v3, 0x10000, v14
	v_cmp_eq_u32_sdwa vcc, v14, v2 src0_sel:WORD_0 src1_sel:DWORD
	v_cndmask_b32_e32 v2, v3, v14, vcc
; %bb.365:
	s_or_b64 exec, exec, s[2:3]
	s_mov_b32 s2, 0x7f800000
	v_and_b32_e32 v3, 0x7f800000, v15
	v_cmp_ne_u32_e32 vcc, s2, v3
                                        ; implicit-def: $vgpr3
	s_and_saveexec_b64 s[2:3], vcc
	s_xor_b64 s[2:3], exec, s[2:3]
; %bb.366:
	v_bfe_u32 v3, v15, 16, 1
	s_movk_i32 s8, 0x7fff
	v_add3_u32 v3, v15, v3, s8
; %bb.367:
	s_andn2_saveexec_b64 s[2:3], s[2:3]
; %bb.368:
	v_mov_b32_e32 v3, 0
	v_or_b32_e32 v4, 0x10000, v15
	v_cmp_eq_u32_sdwa vcc, v15, v3 src0_sel:WORD_0 src1_sel:DWORD
	v_cndmask_b32_e32 v3, v4, v15, vcc
; %bb.369:
	s_or_b64 exec, exec, s[2:3]
	s_mov_b32 s2, 0x7f800000
	v_and_b32_e32 v4, 0x7f800000, v16
	v_cmp_ne_u32_e32 vcc, s2, v4
                                        ; implicit-def: $vgpr4
	s_and_saveexec_b64 s[2:3], vcc
	s_xor_b64 s[2:3], exec, s[2:3]
; %bb.370:
	v_bfe_u32 v4, v16, 16, 1
	s_movk_i32 s8, 0x7fff
	v_add3_u32 v4, v16, v4, s8
; %bb.371:
	s_andn2_saveexec_b64 s[2:3], s[2:3]
; %bb.372:
	v_mov_b32_e32 v4, 0
	v_or_b32_e32 v5, 0x10000, v16
	v_cmp_eq_u32_sdwa vcc, v16, v4 src0_sel:WORD_0 src1_sel:DWORD
	v_cndmask_b32_e32 v4, v5, v16, vcc
; %bb.373:
	s_or_b64 exec, exec, s[2:3]
	s_mov_b32 s2, 0x7f800000
	v_and_b32_e32 v5, 0x7f800000, v17
	v_cmp_ne_u32_e32 vcc, s2, v5
                                        ; implicit-def: $vgpr5
	s_and_saveexec_b64 s[2:3], vcc
	s_xor_b64 s[2:3], exec, s[2:3]
; %bb.374:
	v_bfe_u32 v5, v17, 16, 1
	s_movk_i32 s8, 0x7fff
	v_add3_u32 v5, v17, v5, s8
; %bb.375:
	s_andn2_saveexec_b64 s[2:3], s[2:3]
; %bb.376:
	v_mov_b32_e32 v5, 0
	v_or_b32_e32 v6, 0x10000, v17
	v_cmp_eq_u32_sdwa vcc, v17, v5 src0_sel:WORD_0 src1_sel:DWORD
	v_cndmask_b32_e32 v5, v6, v17, vcc
; %bb.377:
	s_or_b64 exec, exec, s[2:3]
	s_mov_b32 s2, 0x7f800000
	v_and_b32_e32 v6, 0x7f800000, v18
	v_cmp_ne_u32_e32 vcc, s2, v6
                                        ; implicit-def: $vgpr6
	s_and_saveexec_b64 s[2:3], vcc
	s_xor_b64 s[2:3], exec, s[2:3]
; %bb.378:
	v_bfe_u32 v6, v18, 16, 1
	s_movk_i32 s8, 0x7fff
	v_add3_u32 v6, v18, v6, s8
; %bb.379:
	s_andn2_saveexec_b64 s[2:3], s[2:3]
; %bb.380:
	v_mov_b32_e32 v6, 0
	v_or_b32_e32 v7, 0x10000, v18
	v_cmp_eq_u32_sdwa vcc, v18, v6 src0_sel:WORD_0 src1_sel:DWORD
	v_cndmask_b32_e32 v6, v7, v18, vcc
; %bb.381:
	s_or_b64 exec, exec, s[2:3]
	s_mov_b32 s2, 0x7f800000
	s_waitcnt lgkmcnt(0)
	v_and_b32_e32 v7, 0x7f800000, v19
	v_cmp_ne_u32_e32 vcc, s2, v7
                                        ; implicit-def: $vgpr7
	s_and_saveexec_b64 s[2:3], vcc
	s_xor_b64 s[2:3], exec, s[2:3]
; %bb.382:
	v_bfe_u32 v7, v19, 16, 1
	s_movk_i32 s8, 0x7fff
	v_add3_u32 v7, v19, v7, s8
; %bb.383:
	s_andn2_saveexec_b64 s[2:3], s[2:3]
; %bb.384:
	v_mov_b32_e32 v7, 0
	v_or_b32_e32 v8, 0x10000, v19
	v_cmp_eq_u32_sdwa vcc, v19, v7 src0_sel:WORD_0 src1_sel:DWORD
	v_cndmask_b32_e32 v7, v8, v19, vcc
; %bb.385:
	s_or_b64 exec, exec, s[2:3]
	s_mov_b32 s2, 0x7f800000
	v_and_b32_e32 v8, 0x7f800000, v20
	v_cmp_ne_u32_e32 vcc, s2, v8
                                        ; implicit-def: $vgpr8
	s_and_saveexec_b64 s[2:3], vcc
	s_xor_b64 s[2:3], exec, s[2:3]
; %bb.386:
	v_bfe_u32 v8, v20, 16, 1
	s_movk_i32 s8, 0x7fff
	v_add3_u32 v8, v20, v8, s8
; %bb.387:
	s_andn2_saveexec_b64 s[2:3], s[2:3]
; %bb.388:
	v_mov_b32_e32 v8, 0
	v_or_b32_e32 v9, 0x10000, v20
	v_cmp_eq_u32_sdwa vcc, v20, v8 src0_sel:WORD_0 src1_sel:DWORD
	v_cndmask_b32_e32 v8, v9, v20, vcc
; %bb.389:
	s_or_b64 exec, exec, s[2:3]
	s_mov_b32 s2, 0x7f800000
	v_and_b32_e32 v9, 0x7f800000, v21
	v_cmp_ne_u32_e32 vcc, s2, v9
                                        ; implicit-def: $vgpr9
	s_and_saveexec_b64 s[2:3], vcc
	s_xor_b64 s[2:3], exec, s[2:3]
; %bb.390:
	v_bfe_u32 v9, v21, 16, 1
	s_movk_i32 s8, 0x7fff
	v_add3_u32 v9, v21, v9, s8
; %bb.391:
	s_andn2_saveexec_b64 s[2:3], s[2:3]
; %bb.392:
	v_mov_b32_e32 v9, 0
	v_or_b32_e32 v12, 0x10000, v21
	v_cmp_eq_u32_sdwa vcc, v21, v9 src0_sel:WORD_0 src1_sel:DWORD
	v_cndmask_b32_e32 v9, v12, v21, vcc
; %bb.393:
	s_or_b64 exec, exec, s[2:3]
	s_mov_b32 s2, 0x7f800000
	v_and_b32_e32 v12, 0x7f800000, v22
	v_cmp_ne_u32_e32 vcc, s2, v12
                                        ; implicit-def: $vgpr28
	s_and_saveexec_b64 s[2:3], vcc
	s_xor_b64 s[2:3], exec, s[2:3]
; %bb.394:
	v_bfe_u32 v12, v22, 16, 1
	s_movk_i32 s8, 0x7fff
	v_add3_u32 v28, v22, v12, s8
; %bb.395:
	s_andn2_saveexec_b64 s[2:3], s[2:3]
; %bb.396:
	v_mov_b32_e32 v12, 0
	v_or_b32_e32 v13, 0x10000, v22
	v_cmp_eq_u32_sdwa vcc, v22, v12 src0_sel:WORD_0 src1_sel:DWORD
	v_cndmask_b32_e32 v28, v13, v22, vcc
; %bb.397:
	s_or_b64 exec, exec, s[2:3]
	s_mov_b32 s2, 0x7f800000
	v_and_b32_e32 v12, 0x7f800000, v23
	v_cmp_ne_u32_e32 vcc, s2, v12
                                        ; implicit-def: $vgpr29
	s_and_saveexec_b64 s[2:3], vcc
	s_xor_b64 s[2:3], exec, s[2:3]
; %bb.398:
	v_bfe_u32 v12, v23, 16, 1
	s_movk_i32 s8, 0x7fff
	v_add3_u32 v29, v23, v12, s8
; %bb.399:
	s_andn2_saveexec_b64 s[2:3], s[2:3]
; %bb.400:
	v_mov_b32_e32 v12, 0
	v_or_b32_e32 v13, 0x10000, v23
	v_cmp_eq_u32_sdwa vcc, v23, v12 src0_sel:WORD_0 src1_sel:DWORD
	v_cndmask_b32_e32 v29, v13, v23, vcc
; %bb.401:
	s_or_b64 exec, exec, s[2:3]
	s_mov_b32 s2, 0x7f800000
	v_and_b32_e32 v12, 0x7f800000, v24
	v_cmp_ne_u32_e32 vcc, s2, v12
                                        ; implicit-def: $vgpr30
	s_and_saveexec_b64 s[2:3], vcc
	s_xor_b64 s[2:3], exec, s[2:3]
; %bb.402:
	v_bfe_u32 v12, v24, 16, 1
	s_movk_i32 s8, 0x7fff
	v_add3_u32 v30, v24, v12, s8
; %bb.403:
	s_andn2_saveexec_b64 s[2:3], s[2:3]
; %bb.404:
	v_mov_b32_e32 v12, 0
	v_or_b32_e32 v13, 0x10000, v24
	v_cmp_eq_u32_sdwa vcc, v24, v12 src0_sel:WORD_0 src1_sel:DWORD
	v_cndmask_b32_e32 v30, v13, v24, vcc
; %bb.405:
	s_or_b64 exec, exec, s[2:3]
	s_mov_b32 s2, 0x7f800000
	v_and_b32_e32 v12, 0x7f800000, v25
	v_cmp_ne_u32_e32 vcc, s2, v12
                                        ; implicit-def: $vgpr31
	s_and_saveexec_b64 s[2:3], vcc
	s_xor_b64 s[2:3], exec, s[2:3]
; %bb.406:
	v_bfe_u32 v12, v25, 16, 1
	s_movk_i32 s8, 0x7fff
	v_add3_u32 v31, v25, v12, s8
; %bb.407:
	s_andn2_saveexec_b64 s[2:3], s[2:3]
; %bb.408:
	v_mov_b32_e32 v12, 0
	v_or_b32_e32 v13, 0x10000, v25
	v_cmp_eq_u32_sdwa vcc, v25, v12 src0_sel:WORD_0 src1_sel:DWORD
	v_cndmask_b32_e32 v31, v13, v25, vcc
; %bb.409:
	s_or_b64 exec, exec, s[2:3]
	s_mov_b32 s2, 0x7f800000
	v_and_b32_e32 v12, 0x7f800000, v26
	v_cmp_ne_u32_e32 vcc, s2, v12
                                        ; implicit-def: $vgpr32
	s_and_saveexec_b64 s[2:3], vcc
	s_xor_b64 s[2:3], exec, s[2:3]
; %bb.410:
	v_bfe_u32 v12, v26, 16, 1
	s_movk_i32 s8, 0x7fff
	v_add3_u32 v32, v26, v12, s8
; %bb.411:
	s_andn2_saveexec_b64 s[2:3], s[2:3]
; %bb.412:
	v_mov_b32_e32 v12, 0
	v_or_b32_e32 v13, 0x10000, v26
	v_cmp_eq_u32_sdwa vcc, v26, v12 src0_sel:WORD_0 src1_sel:DWORD
	v_cndmask_b32_e32 v32, v13, v26, vcc
; %bb.413:
	s_or_b64 exec, exec, s[2:3]
	s_mov_b32 s2, 0x7f800000
	v_and_b32_e32 v12, 0x7f800000, v27
	v_cmp_ne_u32_e32 vcc, s2, v12
                                        ; implicit-def: $vgpr33
	s_and_saveexec_b64 s[2:3], vcc
	s_xor_b64 s[2:3], exec, s[2:3]
; %bb.414:
	v_bfe_u32 v12, v27, 16, 1
	s_movk_i32 s8, 0x7fff
	v_add3_u32 v33, v27, v12, s8
                                        ; implicit-def: $vgpr12_vgpr13_vgpr14_vgpr15_vgpr16_vgpr17_vgpr18_vgpr19_vgpr20_vgpr21_vgpr22_vgpr23_vgpr24_vgpr25_vgpr26_vgpr27
; %bb.415:
	s_andn2_saveexec_b64 s[2:3], s[2:3]
; %bb.416:
	v_mov_b32_e32 v12, 0
	v_or_b32_e32 v13, 0x10000, v27
	v_cmp_eq_u32_sdwa vcc, v27, v12 src0_sel:WORD_0 src1_sel:DWORD
	v_cndmask_b32_e32 v33, v13, v27, vcc
; %bb.417:
	s_or_b64 exec, exec, s[2:3]
	v_lshlrev_b64 v[10:11], 16, v[10:11]
	v_ashrrev_i32_e32 v45, 31, v44
	v_mov_b32_e32 v12, s7
	v_add_co_u32_e32 v13, vcc, s6, v10
	v_addc_co_u32_e32 v12, vcc, v12, v11, vcc
	v_lshlrev_b64 v[10:11], 10, v[44:45]
	v_add_co_u32_e32 v10, vcc, v13, v10
	v_addc_co_u32_e32 v11, vcc, v12, v11, vcc
	v_lshlrev_b32_e32 v12, 1, v46
	v_add_co_u32_e32 v10, vcc, v10, v12
	s_mov_b32 s2, 0x7060302
	v_addc_co_u32_e32 v11, vcc, 0, v11, vcc
	v_perm_b32 v7, v7, v6, s2
	v_perm_b32 v6, v5, v4, s2
	v_perm_b32 v5, v3, v2, s2
	v_perm_b32 v4, v1, v0, s2
	v_perm_b32 v3, v33, v32, s2
	v_perm_b32 v2, v31, v30, s2
	v_perm_b32 v1, v29, v28, s2
	v_perm_b32 v0, v9, v8, s2
	global_store_dwordx4 v[10:11], v[4:7], off
	global_store_dwordx4 v[10:11], v[0:3], off offset:16
	s_or_b64 exec, exec, s[0:1]
                                        ; implicit-def: $vgpr10
                                        ; implicit-def: $vgpr44
                                        ; implicit-def: $vgpr46
	s_andn2_saveexec_b64 s[0:1], s[4:5]
	s_cbranch_execnz .LBB8_9
	s_branch .LBB8_10
	.section	.rodata,"a",@progbits
	.p2align	6, 0x0
	.amdhsa_kernel _ZN4vllm21deepseek_v4_fused_ops47fusedDeepseekV4QNormRopeKVRopeQuantInsertKernelIN3c108BFloat16ELi64EEEvPKT_PS4_S6_PhPKlSA_PKffiiiii
		.amdhsa_group_segment_fixed_size 0
		.amdhsa_private_segment_fixed_size 0
		.amdhsa_kernarg_size 336
		.amdhsa_user_sgpr_count 6
		.amdhsa_user_sgpr_private_segment_buffer 1
		.amdhsa_user_sgpr_dispatch_ptr 0
		.amdhsa_user_sgpr_queue_ptr 0
		.amdhsa_user_sgpr_kernarg_segment_ptr 1
		.amdhsa_user_sgpr_dispatch_id 0
		.amdhsa_user_sgpr_flat_scratch_init 0
		.amdhsa_user_sgpr_kernarg_preload_length 0
		.amdhsa_user_sgpr_kernarg_preload_offset 0
		.amdhsa_user_sgpr_private_segment_size 0
		.amdhsa_uses_dynamic_stack 0
		.amdhsa_system_sgpr_private_segment_wavefront_offset 0
		.amdhsa_system_sgpr_workgroup_id_x 1
		.amdhsa_system_sgpr_workgroup_id_y 0
		.amdhsa_system_sgpr_workgroup_id_z 0
		.amdhsa_system_sgpr_workgroup_info 0
		.amdhsa_system_vgpr_workitem_id 0
		.amdhsa_next_free_vgpr 56
		.amdhsa_next_free_sgpr 28
		.amdhsa_accum_offset 56
		.amdhsa_reserve_vcc 1
		.amdhsa_reserve_flat_scratch 0
		.amdhsa_float_round_mode_32 0
		.amdhsa_float_round_mode_16_64 0
		.amdhsa_float_denorm_mode_32 3
		.amdhsa_float_denorm_mode_16_64 3
		.amdhsa_dx10_clamp 1
		.amdhsa_ieee_mode 1
		.amdhsa_fp16_overflow 0
		.amdhsa_tg_split 0
		.amdhsa_exception_fp_ieee_invalid_op 0
		.amdhsa_exception_fp_denorm_src 0
		.amdhsa_exception_fp_ieee_div_zero 0
		.amdhsa_exception_fp_ieee_overflow 0
		.amdhsa_exception_fp_ieee_underflow 0
		.amdhsa_exception_fp_ieee_inexact 0
		.amdhsa_exception_int_div_zero 0
	.end_amdhsa_kernel
	.section	.text._ZN4vllm21deepseek_v4_fused_ops47fusedDeepseekV4QNormRopeKVRopeQuantInsertKernelIN3c108BFloat16ELi64EEEvPKT_PS4_S6_PhPKlSA_PKffiiiii,"axG",@progbits,_ZN4vllm21deepseek_v4_fused_ops47fusedDeepseekV4QNormRopeKVRopeQuantInsertKernelIN3c108BFloat16ELi64EEEvPKT_PS4_S6_PhPKlSA_PKffiiiii,comdat
.Lfunc_end8:
	.size	_ZN4vllm21deepseek_v4_fused_ops47fusedDeepseekV4QNormRopeKVRopeQuantInsertKernelIN3c108BFloat16ELi64EEEvPKT_PS4_S6_PhPKlSA_PKffiiiii, .Lfunc_end8-_ZN4vllm21deepseek_v4_fused_ops47fusedDeepseekV4QNormRopeKVRopeQuantInsertKernelIN3c108BFloat16ELi64EEEvPKT_PS4_S6_PhPKlSA_PKffiiiii
                                        ; -- End function
	.section	.AMDGPU.csdata,"",@progbits
; Kernel info:
; codeLenInByte = 14132
; NumSgprs: 32
; NumVgprs: 56
; NumAgprs: 0
; TotalNumVgprs: 56
; ScratchSize: 0
; MemoryBound: 1
; FloatMode: 240
; IeeeMode: 1
; LDSByteSize: 0 bytes/workgroup (compile time only)
; SGPRBlocks: 3
; VGPRBlocks: 6
; NumSGPRsForWavesPerEU: 32
; NumVGPRsForWavesPerEU: 56
; AccumOffset: 56
; Occupancy: 8
; WaveLimiterHint : 1
; COMPUTE_PGM_RSRC2:SCRATCH_EN: 0
; COMPUTE_PGM_RSRC2:USER_SGPR: 6
; COMPUTE_PGM_RSRC2:TRAP_HANDLER: 0
; COMPUTE_PGM_RSRC2:TGID_X_EN: 1
; COMPUTE_PGM_RSRC2:TGID_Y_EN: 0
; COMPUTE_PGM_RSRC2:TGID_Z_EN: 0
; COMPUTE_PGM_RSRC2:TIDIG_COMP_CNT: 0
; COMPUTE_PGM_RSRC3_GFX90A:ACCUM_OFFSET: 13
; COMPUTE_PGM_RSRC3_GFX90A:TG_SPLIT: 0
	.section	.text._ZN4vllm21deepseek_v4_fused_ops47fusedDeepseekV4QNormRopeKVRopeQuantInsertKernelIN3c108BFloat16ELi128EEEvPKT_PS4_S6_PhPKlSA_PKffiiiii,"axG",@progbits,_ZN4vllm21deepseek_v4_fused_ops47fusedDeepseekV4QNormRopeKVRopeQuantInsertKernelIN3c108BFloat16ELi128EEEvPKT_PS4_S6_PhPKlSA_PKffiiiii,comdat
	.protected	_ZN4vllm21deepseek_v4_fused_ops47fusedDeepseekV4QNormRopeKVRopeQuantInsertKernelIN3c108BFloat16ELi128EEEvPKT_PS4_S6_PhPKlSA_PKffiiiii ; -- Begin function _ZN4vllm21deepseek_v4_fused_ops47fusedDeepseekV4QNormRopeKVRopeQuantInsertKernelIN3c108BFloat16ELi128EEEvPKT_PS4_S6_PhPKlSA_PKffiiiii
	.globl	_ZN4vllm21deepseek_v4_fused_ops47fusedDeepseekV4QNormRopeKVRopeQuantInsertKernelIN3c108BFloat16ELi128EEEvPKT_PS4_S6_PhPKlSA_PKffiiiii
	.p2align	8
	.type	_ZN4vllm21deepseek_v4_fused_ops47fusedDeepseekV4QNormRopeKVRopeQuantInsertKernelIN3c108BFloat16ELi128EEEvPKT_PS4_S6_PhPKlSA_PKffiiiii,@function
_ZN4vllm21deepseek_v4_fused_ops47fusedDeepseekV4QNormRopeKVRopeQuantInsertKernelIN3c108BFloat16ELi128EEEvPKT_PS4_S6_PhPKlSA_PKffiiiii: ; @_ZN4vllm21deepseek_v4_fused_ops47fusedDeepseekV4QNormRopeKVRopeQuantInsertKernelIN3c108BFloat16ELi128EEEvPKT_PS4_S6_PhPKlSA_PKffiiiii
; %bb.0:
	s_load_dword s0, s[4:5], 0x5c
	s_load_dwordx4 s[16:19], s[4:5], 0x38
	v_lshrrev_b32_e32 v1, 5, v0
	s_waitcnt lgkmcnt(0)
	s_bfe_u32 s0, s0, 0xb0005
	s_mul_i32 s6, s6, s0
	v_add_u32_e32 v1, s6, v1
	s_mov_b32 s0, 0xfe03f81
	v_mul_hi_i32 v2, v1, s0
	v_lshrrev_b32_e32 v3, 31, v2
	v_ashrrev_i32_e32 v2, 3, v2
	v_add_u32_e32 v10, v2, v3
	v_cmp_gt_i32_e32 vcc, s17, v10
	s_and_saveexec_b64 s[0:1], vcc
	s_cbranch_execz .LBB9_10
; %bb.1:
	s_load_dwordx2 s[20:21], s[4:5], 0x48
	v_lshl_add_u32 v2, v10, 7, v10
	v_sub_u32_e32 v44, v1, v2
	s_movk_i32 s0, 0x80
	v_cmp_eq_u32_e32 vcc, s0, v44
	v_cmp_ne_u32_e64 s[0:1], s0, v44
	v_cmp_gt_i32_e64 s[2:3], s18, v10
	s_or_b64 s[2:3], s[0:1], s[2:3]
	s_and_b64 exec, exec, s[2:3]
	s_cbranch_execz .LBB9_10
; %bb.2:
	s_load_dwordx2 s[6:7], s[4:5], 0x8
	s_load_dwordx8 s[8:15], s[4:5], 0x18
	v_cmp_gt_i32_e64 s[2:3], s19, v44
	s_xor_b64 s[22:23], s[0:1], -1
	v_and_b32_e32 v47, 31, v0
	s_or_b64 s[22:23], s[22:23], s[2:3]
	v_lshlrev_b32_e32 v46, 4, v47
	v_ashrrev_i32_e32 v11, 31, v10
                                        ; implicit-def: $vgpr9
                                        ; implicit-def: $vgpr5
	s_and_saveexec_b64 s[24:25], s[22:23]
	s_cbranch_execz .LBB9_11
; %bb.3:
                                        ; implicit-def: $vgpr12_vgpr13
	s_and_saveexec_b64 s[2:3], vcc
	s_xor_b64 s[26:27], exec, s[2:3]
	s_cbranch_execz .LBB9_5
; %bb.4:
	s_load_dwordx2 s[2:3], s[4:5], 0x10
	v_lshlrev_b64 v[2:3], 10, v[10:11]
	s_waitcnt lgkmcnt(0)
	v_mov_b32_e32 v1, s3
	v_add_co_u32_e64 v2, s[2:3], s2, v2
	v_addc_co_u32_e64 v1, s[2:3], v1, v3, s[2:3]
	v_lshlrev_b32_e32 v3, 1, v46
	v_add_co_u32_e64 v12, s[2:3], v2, v3
	v_addc_co_u32_e64 v13, s[2:3], 0, v1, s[2:3]
.LBB9_5:
	s_andn2_saveexec_b64 s[26:27], s[26:27]
	s_cbranch_execz .LBB9_7
; %bb.6:
	s_load_dwordx2 s[2:3], s[4:5], 0x0
	v_ashrrev_i32_e32 v45, 31, v44
	v_mad_i64_i32 v[2:3], s[4:5], v10, s19, v[44:45]
	v_lshlrev_b64 v[2:3], 10, v[2:3]
	v_lshl_or_b32 v1, v46, 1, v2
	s_waitcnt lgkmcnt(0)
	v_mov_b32_e32 v2, s3
	v_add_co_u32_e64 v12, s[2:3], s2, v1
	v_addc_co_u32_e64 v13, s[2:3], v2, v3, s[2:3]
.LBB9_7:
	s_or_b64 exec, exec, s[26:27]
	global_load_dwordx4 v[6:9], v[12:13], off
	global_load_dwordx4 v[2:5], v[12:13], off offset:16
	s_or_b64 exec, exec, s[24:25]
	s_and_saveexec_b64 s[2:3], s[22:23]
	s_xor_b64 s[4:5], exec, s[2:3]
	s_cbranch_execnz .LBB9_12
.LBB9_8:
	s_andn2_saveexec_b64 s[0:1], s[4:5]
	s_cbranch_execz .LBB9_10
.LBB9_9:
	v_lshlrev_b64 v[0:1], 17, v[10:11]
	v_ashrrev_i32_e32 v45, 31, v44
	s_waitcnt vmcnt(0) lgkmcnt(0)
	v_mov_b32_e32 v2, s7
	v_add_co_u32_e32 v3, vcc, s6, v0
	v_addc_co_u32_e32 v2, vcc, v2, v1, vcc
	v_lshlrev_b64 v[0:1], 10, v[44:45]
	v_add_co_u32_e32 v0, vcc, v3, v0
	v_addc_co_u32_e32 v1, vcc, v2, v1, vcc
	v_lshlrev_b32_e32 v2, 1, v46
	s_mov_b32 s0, 0
	v_add_co_u32_e32 v4, vcc, v0, v2
	s_mov_b32 s1, s0
	v_addc_co_u32_e32 v5, vcc, 0, v1, vcc
	s_mov_b32 s2, s0
	s_mov_b32 s3, s0
	v_pk_mov_b32 v[0:1], s[0:1], s[0:1] op_sel:[0,1]
	v_pk_mov_b32 v[2:3], s[2:3], s[2:3] op_sel:[0,1]
	global_store_dwordx4 v[4:5], v[0:3], off
	global_store_dwordx4 v[4:5], v[0:3], off offset:16
.LBB9_10:
	s_endpgm
.LBB9_11:
	s_or_b64 exec, exec, s[24:25]
	s_and_saveexec_b64 s[2:3], s[22:23]
	s_xor_b64 s[4:5], exec, s[2:3]
	s_cbranch_execz .LBB9_8
.LBB9_12:
	s_waitcnt vmcnt(1)
	v_and_b32_e32 v13, 0xffff0000, v6
	v_lshlrev_b32_e32 v12, 16, v6
	v_and_b32_e32 v15, 0xffff0000, v7
	v_lshlrev_b32_e32 v14, 16, v7
	;; [unrolled: 2-line block ×4, first 2 shown]
	s_waitcnt vmcnt(0)
	v_and_b32_e32 v21, 0xffff0000, v2
	v_lshlrev_b32_e32 v20, 16, v2
	v_and_b32_e32 v23, 0xffff0000, v3
	v_lshlrev_b32_e32 v22, 16, v3
	;; [unrolled: 2-line block ×4, first 2 shown]
	s_and_saveexec_b64 s[2:3], s[0:1]
	s_cbranch_execz .LBB9_14
; %bb.13:
	v_pk_mul_f32 v[2:3], v[12:13], v[12:13]
	v_pk_mul_f32 v[4:5], v[14:15], v[14:15]
	v_add_f32_e32 v1, v2, v3
	v_add_f32_e32 v1, v4, v1
	v_pk_mul_f32 v[6:7], v[16:17], v[16:17]
	v_add_f32_e32 v1, v5, v1
	v_add_f32_e32 v1, v6, v1
	;; [unrolled: 3-line block ×4, first 2 shown]
	v_pk_mul_f32 v[30:31], v[22:23], v[22:23]
	v_add_f32_e32 v1, v29, v1
	v_mbcnt_lo_u32_b32 v2, -1, 0
	v_add_f32_e32 v1, v30, v1
	v_mbcnt_hi_u32_b32 v2, -1, v2
	v_pk_mul_f32 v[32:33], v[24:25], v[24:25]
	v_add_f32_e32 v1, v31, v1
	v_and_b32_e32 v3, 0x60, v2
	v_add_f32_e32 v1, v32, v1
	v_add_u32_e32 v3, 32, v3
	v_xor_b32_e32 v4, 16, v2
	v_pk_mul_f32 v[34:35], v[26:27], v[26:27]
	v_add_f32_e32 v1, v33, v1
	v_cmp_lt_i32_e64 s[0:1], v4, v3
	v_add_f32_e32 v1, v34, v1
	v_cndmask_b32_e64 v4, v2, v4, s[0:1]
	v_add_f32_e32 v1, v35, v1
	v_lshlrev_b32_e32 v4, 2, v4
	ds_bpermute_b32 v4, v4, v1
	s_waitcnt lgkmcnt(0)
	v_add_f32_e32 v1, v1, v4
	v_xor_b32_e32 v4, 8, v2
	v_cmp_lt_i32_e64 s[0:1], v4, v3
	v_cndmask_b32_e64 v4, v2, v4, s[0:1]
	v_lshlrev_b32_e32 v4, 2, v4
	ds_bpermute_b32 v4, v4, v1
	s_waitcnt lgkmcnt(0)
	v_add_f32_e32 v1, v1, v4
	v_xor_b32_e32 v4, 4, v2
	v_cmp_lt_i32_e64 s[0:1], v4, v3
	v_cndmask_b32_e64 v4, v2, v4, s[0:1]
	;; [unrolled: 7-line block ×4, first 2 shown]
	v_lshlrev_b32_e32 v2, 2, v2
	ds_bpermute_b32 v2, v2, v1
	s_mov_b32 s0, 0x800000
	s_waitcnt lgkmcnt(0)
	v_add_f32_e32 v1, v1, v2
	v_mov_b32_e32 v2, s16
	v_fmac_f32_e32 v2, 0x3b000000, v1
	v_mul_f32_e32 v1, 0x4b800000, v2
	v_cmp_gt_f32_e64 s[0:1], s0, v2
	v_cndmask_b32_e64 v1, v2, v1, s[0:1]
	v_rsq_f32_e32 v1, v1
	v_mul_f32_e32 v2, 0x45800000, v1
	v_cndmask_b32_e64 v2, v1, v2, s[0:1]
	v_pk_mul_f32 v[26:27], v[2:3], v[26:27] op_sel_hi:[0,1]
	v_pk_mul_f32 v[24:25], v[2:3], v[24:25] op_sel_hi:[0,1]
	;; [unrolled: 1-line block ×8, first 2 shown]
.LBB9_14:
	s_or_b64 exec, exec, s[2:3]
	v_cmp_gt_u32_e64 s[0:1], 28, v47
	v_cmp_lt_u32_e64 s[2:3], 27, v47
	s_and_saveexec_b64 s[16:17], s[2:3]
	s_cbranch_execz .LBB9_18
; %bb.15:
	v_lshlrev_b64 v[2:3], 3, v[10:11]
	s_waitcnt lgkmcnt(0)
	v_mov_b32_e32 v1, s13
	v_add_co_u32_e64 v2, s[2:3], s12, v2
	v_addc_co_u32_e64 v3, s[2:3], v1, v3, s[2:3]
	global_load_dwordx2 v[2:3], v[2:3], off
	v_add_u32_e32 v4, 0xfffffe40, v46
	v_mov_b32_e32 v1, s15
	v_mov_b32_e32 v5, 0
	v_lshrrev_b32_e32 v4, 1, v4
	v_lshlrev_b64 v[4:5], 2, v[4:5]
	s_waitcnt vmcnt(0)
	v_lshlrev_b64 v[2:3], 8, v[2:3]
	v_add_co_u32_e64 v2, s[2:3], s14, v2
	v_addc_co_u32_e64 v1, s[2:3], v1, v3, s[2:3]
	v_add_co_u32_e64 v28, s[2:3], v2, v4
	v_addc_co_u32_e64 v29, s[2:3], v1, v5, s[2:3]
	global_load_dwordx4 v[2:5], v[28:29], off offset:128
	global_load_dwordx4 v[6:9], v[28:29], off offset:144
	global_load_dwordx4 v[48:51], v[28:29], off
	global_load_dwordx4 v[52:55], v[28:29], off offset:16
	s_waitcnt vmcnt(3)
	v_mul_f32_e32 v1, v13, v2
	v_mul_f32_e32 v29, v12, v2
	;; [unrolled: 1-line block ×8, first 2 shown]
	s_waitcnt vmcnt(2)
	v_mul_f32_e32 v5, v21, v6
	v_mul_f32_e32 v37, v20, v6
	;; [unrolled: 1-line block ×8, first 2 shown]
	s_waitcnt vmcnt(1)
	v_fma_f32 v28, v12, v48, -v1
	v_fmac_f32_e32 v29, v13, v48
	v_fma_f32 v30, v14, v49, -v2
	v_fmac_f32_e32 v31, v15, v49
	;; [unrolled: 2-line block ×4, first 2 shown]
	s_waitcnt vmcnt(0)
	v_fma_f32 v36, v20, v52, -v5
	v_fmac_f32_e32 v37, v21, v52
	v_fma_f32 v38, v22, v53, -v6
	v_fmac_f32_e32 v39, v23, v53
	;; [unrolled: 2-line block ×4, first 2 shown]
	v_pk_mov_b32 v[12:13], v[28:29], v[28:29] op_sel:[0,1]
	v_pk_mov_b32 v[14:15], v[30:31], v[30:31] op_sel:[0,1]
	;; [unrolled: 1-line block ×8, first 2 shown]
	s_or_b64 exec, exec, s[16:17]
	s_and_saveexec_b64 s[2:3], vcc
	s_xor_b64 s[12:13], exec, s[2:3]
	s_cbranch_execnz .LBB9_19
.LBB9_16:
	s_andn2_saveexec_b64 s[0:1], s[12:13]
	s_cbranch_execnz .LBB9_353
.LBB9_17:
	s_or_b64 exec, exec, s[0:1]
                                        ; implicit-def: $vgpr10
                                        ; implicit-def: $vgpr44
                                        ; implicit-def: $vgpr46
	s_andn2_saveexec_b64 s[0:1], s[4:5]
	s_cbranch_execnz .LBB9_9
	s_branch .LBB9_10
.LBB9_18:
	s_or_b64 exec, exec, s[16:17]
	s_and_saveexec_b64 s[2:3], vcc
	s_waitcnt lgkmcnt(0)
	s_xor_b64 s[12:13], exec, s[2:3]
	s_cbranch_execz .LBB9_16
.LBB9_19:
	v_lshlrev_b64 v[2:3], 3, v[10:11]
	v_mov_b32_e32 v1, s11
	v_add_co_u32_e32 v2, vcc, s10, v2
	v_addc_co_u32_e32 v3, vcc, v1, v3, vcc
	global_load_dwordx2 v[30:31], v[2:3], off
	s_waitcnt vmcnt(0)
	v_cmp_lt_i64_e32 vcc, -1, v[30:31]
	s_and_saveexec_b64 s[10:11], vcc
                                        ; implicit-def: $vgpr11
	s_cbranch_execz .LBB9_352
; %bb.20:
	s_ashr_i32 s22, s20, 31
	v_or_b32_e32 v3, s22, v31
	v_mov_b32_e32 v2, 0
	v_cmp_ne_u64_e32 vcc, 0, v[2:3]
                                        ; implicit-def: $vgpr32_vgpr33
	s_and_saveexec_b64 s[2:3], vcc
	s_xor_b64 s[14:15], exec, s[2:3]
	s_cbranch_execz .LBB9_22
; %bb.21:
	s_add_u32 s2, s20, s22
	s_mov_b32 s16, s22
	s_mov_b32 s17, s22
	s_addc_u32 s3, s22, s22
	s_xor_b64 s[18:19], s[2:3], s[16:17]
	v_cvt_f32_u32_e32 v1, s18
	v_cvt_f32_u32_e32 v2, s19
	s_sub_u32 s2, 0, s18
	s_subb_u32 s3, 0, s19
	v_madmk_f32 v1, v2, 0x4f800000, v1
	v_rcp_f32_e32 v1, v1
	v_mul_f32_e32 v1, 0x5f7ffffc, v1
	v_mul_f32_e32 v2, 0x2f800000, v1
	v_trunc_f32_e32 v2, v2
	v_madmk_f32 v1, v2, 0xcf800000, v1
	v_cvt_u32_f32_e32 v2, v2
	v_cvt_u32_f32_e32 v1, v1
	v_mul_lo_u32 v3, s2, v2
	v_mul_hi_u32 v5, s2, v1
	v_mul_lo_u32 v4, s3, v1
	v_add_u32_e32 v3, v5, v3
	v_mul_lo_u32 v6, s2, v1
	v_add_u32_e32 v3, v3, v4
	v_mul_lo_u32 v5, v1, v3
	v_mul_hi_u32 v7, v1, v6
	v_mul_hi_u32 v4, v1, v3
	v_add_co_u32_e32 v5, vcc, v7, v5
	v_addc_co_u32_e32 v4, vcc, 0, v4, vcc
	v_mul_hi_u32 v8, v2, v6
	v_mul_lo_u32 v6, v2, v6
	v_add_co_u32_e32 v5, vcc, v5, v6
	v_mul_hi_u32 v7, v2, v3
	v_addc_co_u32_e32 v4, vcc, v4, v8, vcc
	v_addc_co_u32_e32 v5, vcc, 0, v7, vcc
	v_mul_lo_u32 v3, v2, v3
	v_add_co_u32_e32 v3, vcc, v4, v3
	v_addc_co_u32_e32 v4, vcc, 0, v5, vcc
	v_add_co_u32_e32 v1, vcc, v1, v3
	v_addc_co_u32_e32 v2, vcc, v2, v4, vcc
	v_mul_lo_u32 v3, s2, v2
	v_mul_hi_u32 v4, s2, v1
	v_add_u32_e32 v3, v4, v3
	v_mul_lo_u32 v4, s3, v1
	v_add_u32_e32 v3, v3, v4
	v_mul_lo_u32 v5, s2, v1
	v_mul_hi_u32 v6, v2, v5
	v_mul_lo_u32 v7, v2, v5
	v_mul_lo_u32 v9, v1, v3
	v_mul_hi_u32 v5, v1, v5
	v_mul_hi_u32 v8, v1, v3
	v_add_co_u32_e32 v5, vcc, v5, v9
	v_addc_co_u32_e32 v8, vcc, 0, v8, vcc
	v_add_co_u32_e32 v5, vcc, v5, v7
	v_mul_hi_u32 v4, v2, v3
	v_addc_co_u32_e32 v5, vcc, v8, v6, vcc
	v_addc_co_u32_e32 v4, vcc, 0, v4, vcc
	v_mul_lo_u32 v3, v2, v3
	v_add_co_u32_e32 v3, vcc, v5, v3
	v_addc_co_u32_e32 v4, vcc, 0, v4, vcc
	v_add_co_u32_e32 v1, vcc, v1, v3
	v_addc_co_u32_e32 v4, vcc, v2, v4, vcc
	v_ashrrev_i32_e32 v6, 31, v31
	v_add_co_u32_e32 v2, vcc, v30, v6
	v_addc_co_u32_e32 v3, vcc, v31, v6, vcc
	v_xor_b32_e32 v8, v2, v6
	v_xor_b32_e32 v7, v3, v6
	v_mad_u64_u32 v[2:3], s[2:3], v8, v4, 0
	v_mul_hi_u32 v5, v8, v1
	v_add_co_u32_e32 v9, vcc, v5, v2
	v_addc_co_u32_e32 v10, vcc, 0, v3, vcc
	v_mad_u64_u32 v[2:3], s[2:3], v7, v4, 0
	v_mad_u64_u32 v[4:5], s[2:3], v7, v1, 0
	v_add_co_u32_e32 v1, vcc, v9, v4
	v_addc_co_u32_e32 v1, vcc, v10, v5, vcc
	v_addc_co_u32_e32 v3, vcc, 0, v3, vcc
	v_add_co_u32_e32 v1, vcc, v1, v2
	v_addc_co_u32_e32 v4, vcc, 0, v3, vcc
	v_mul_lo_u32 v5, s19, v1
	v_mul_lo_u32 v9, s18, v4
	v_mad_u64_u32 v[2:3], s[2:3], s18, v1, 0
	v_add3_u32 v3, v3, v9, v5
	v_sub_u32_e32 v5, v7, v3
	v_mov_b32_e32 v9, s19
	v_sub_co_u32_e32 v2, vcc, v8, v2
	v_subb_co_u32_e64 v5, s[2:3], v5, v9, vcc
	v_subrev_co_u32_e64 v8, s[2:3], s18, v2
	v_subbrev_co_u32_e64 v5, s[2:3], 0, v5, s[2:3]
	v_cmp_le_u32_e64 s[2:3], s19, v5
	v_cndmask_b32_e64 v9, 0, -1, s[2:3]
	v_cmp_le_u32_e64 s[2:3], s18, v8
	v_cndmask_b32_e64 v8, 0, -1, s[2:3]
	v_cmp_eq_u32_e64 s[2:3], s19, v5
	v_cndmask_b32_e64 v5, v9, v8, s[2:3]
	v_add_co_u32_e64 v8, s[2:3], 2, v1
	v_subb_co_u32_e32 v3, vcc, v7, v3, vcc
	v_addc_co_u32_e64 v9, s[2:3], 0, v4, s[2:3]
	v_cmp_le_u32_e32 vcc, s19, v3
	v_add_co_u32_e64 v10, s[2:3], 1, v1
	v_cndmask_b32_e64 v7, 0, -1, vcc
	v_cmp_le_u32_e32 vcc, s18, v2
	v_addc_co_u32_e64 v11, s[2:3], 0, v4, s[2:3]
	v_cndmask_b32_e64 v2, 0, -1, vcc
	v_cmp_eq_u32_e32 vcc, s19, v3
	v_cmp_ne_u32_e64 s[2:3], 0, v5
	v_cndmask_b32_e32 v2, v7, v2, vcc
	v_cndmask_b32_e64 v5, v11, v9, s[2:3]
	v_cmp_ne_u32_e32 vcc, 0, v2
	v_cndmask_b32_e64 v3, v10, v8, s[2:3]
	v_cndmask_b32_e32 v2, v4, v5, vcc
	v_cndmask_b32_e32 v1, v1, v3, vcc
	v_xor_b32_e32 v4, s16, v6
	v_xor_b32_e32 v3, s17, v6
	;; [unrolled: 1-line block ×4, first 2 shown]
	v_sub_co_u32_e32 v32, vcc, v1, v4
	v_subb_co_u32_e32 v33, vcc, v2, v3, vcc
.LBB9_22:
	s_andn2_saveexec_b64 s[2:3], s[14:15]
	s_cbranch_execz .LBB9_24
; %bb.23:
	v_cvt_f32_u32_e32 v1, s20
	s_sub_i32 s14, 0, s20
	v_mov_b32_e32 v33, 0
	v_rcp_iflag_f32_e32 v1, v1
	v_mul_f32_e32 v1, 0x4f7ffffe, v1
	v_cvt_u32_f32_e32 v1, v1
	v_mul_lo_u32 v2, s14, v1
	v_mul_hi_u32 v2, v1, v2
	v_add_u32_e32 v1, v1, v2
	v_mul_hi_u32 v1, v30, v1
	v_mul_lo_u32 v2, v1, s20
	v_sub_u32_e32 v2, v30, v2
	v_add_u32_e32 v3, 1, v1
	v_subrev_u32_e32 v4, s20, v2
	v_cmp_le_u32_e32 vcc, s20, v2
	v_cndmask_b32_e32 v2, v2, v4, vcc
	v_cndmask_b32_e32 v1, v1, v3, vcc
	v_add_u32_e32 v3, 1, v1
	v_cmp_le_u32_e32 vcc, s20, v2
	v_cndmask_b32_e32 v32, v1, v3, vcc
.LBB9_24:
	s_or_b64 exec, exec, s[2:3]
	s_mov_b32 s2, 0x7f800000
	v_and_b32_e32 v1, 0x7f800000, v12
	v_cmp_ne_u32_e32 vcc, s2, v1
                                        ; implicit-def: $vgpr29
	s_and_saveexec_b64 s[2:3], vcc
	s_xor_b64 s[2:3], exec, s[2:3]
; %bb.25:
	v_bfe_u32 v1, v12, 16, 1
	s_movk_i32 s14, 0x7fff
	v_add3_u32 v29, v12, v1, s14
; %bb.26:
	s_andn2_saveexec_b64 s[2:3], s[2:3]
; %bb.27:
	v_mov_b32_e32 v1, 0
	v_or_b32_e32 v2, 0x10000, v12
	v_cmp_eq_u32_sdwa vcc, v12, v1 src0_sel:WORD_0 src1_sel:DWORD
	v_cndmask_b32_e32 v29, v2, v12, vcc
; %bb.28:
	s_or_b64 exec, exec, s[2:3]
	s_mov_b32 s2, 0x7f800000
	v_and_b32_e32 v1, 0x7f800000, v13
	v_and_b32_e32 v28, 0xffff0000, v29
	v_cmp_ne_u32_e32 vcc, s2, v1
                                        ; implicit-def: $vgpr34
	s_and_saveexec_b64 s[2:3], vcc
	s_xor_b64 s[2:3], exec, s[2:3]
; %bb.29:
	v_bfe_u32 v1, v13, 16, 1
	s_movk_i32 s14, 0x7fff
	v_add3_u32 v34, v13, v1, s14
; %bb.30:
	s_andn2_saveexec_b64 s[2:3], s[2:3]
; %bb.31:
	v_mov_b32_e32 v1, 0
	v_or_b32_e32 v2, 0x10000, v13
	v_cmp_eq_u32_sdwa vcc, v13, v1 src0_sel:WORD_0 src1_sel:DWORD
	v_cndmask_b32_e32 v34, v2, v13, vcc
; %bb.32:
	s_or_b64 exec, exec, s[2:3]
	s_mov_b32 s2, 0x7f800000
	v_and_b32_e32 v2, 0x7f800000, v14
	v_and_b32_e32 v1, 0xffff0000, v34
	v_cmp_ne_u32_e32 vcc, s2, v2
                                        ; implicit-def: $vgpr35
	s_and_saveexec_b64 s[2:3], vcc
	s_xor_b64 s[2:3], exec, s[2:3]
; %bb.33:
	v_bfe_u32 v2, v14, 16, 1
	s_movk_i32 s14, 0x7fff
	v_add3_u32 v35, v14, v2, s14
; %bb.34:
	s_andn2_saveexec_b64 s[2:3], s[2:3]
; %bb.35:
	v_mov_b32_e32 v2, 0
	v_or_b32_e32 v3, 0x10000, v14
	v_cmp_eq_u32_sdwa vcc, v14, v2 src0_sel:WORD_0 src1_sel:DWORD
	v_cndmask_b32_e32 v35, v3, v14, vcc
; %bb.36:
	s_or_b64 exec, exec, s[2:3]
	s_mov_b32 s2, 0x7f800000
	v_and_b32_e32 v3, 0x7f800000, v15
	v_and_b32_e32 v2, 0xffff0000, v35
	v_cmp_ne_u32_e32 vcc, s2, v3
                                        ; implicit-def: $vgpr36
	s_and_saveexec_b64 s[2:3], vcc
	s_xor_b64 s[2:3], exec, s[2:3]
; %bb.37:
	v_bfe_u32 v3, v15, 16, 1
	s_movk_i32 s14, 0x7fff
	v_add3_u32 v36, v15, v3, s14
; %bb.38:
	s_andn2_saveexec_b64 s[2:3], s[2:3]
; %bb.39:
	v_mov_b32_e32 v3, 0
	v_or_b32_e32 v4, 0x10000, v15
	v_cmp_eq_u32_sdwa vcc, v15, v3 src0_sel:WORD_0 src1_sel:DWORD
	v_cndmask_b32_e32 v36, v4, v15, vcc
; %bb.40:
	s_or_b64 exec, exec, s[2:3]
	s_mov_b32 s2, 0x7f800000
	v_and_b32_e32 v4, 0x7f800000, v16
	v_and_b32_e32 v3, 0xffff0000, v36
	v_cmp_ne_u32_e32 vcc, s2, v4
                                        ; implicit-def: $vgpr37
	s_and_saveexec_b64 s[2:3], vcc
	s_xor_b64 s[2:3], exec, s[2:3]
; %bb.41:
	v_bfe_u32 v4, v16, 16, 1
	s_movk_i32 s14, 0x7fff
	v_add3_u32 v37, v16, v4, s14
; %bb.42:
	s_andn2_saveexec_b64 s[2:3], s[2:3]
; %bb.43:
	v_mov_b32_e32 v4, 0
	v_or_b32_e32 v5, 0x10000, v16
	v_cmp_eq_u32_sdwa vcc, v16, v4 src0_sel:WORD_0 src1_sel:DWORD
	v_cndmask_b32_e32 v37, v5, v16, vcc
; %bb.44:
	s_or_b64 exec, exec, s[2:3]
	s_mov_b32 s2, 0x7f800000
	v_and_b32_e32 v5, 0x7f800000, v17
	v_and_b32_e32 v4, 0xffff0000, v37
	v_cmp_ne_u32_e32 vcc, s2, v5
                                        ; implicit-def: $vgpr38
	s_and_saveexec_b64 s[2:3], vcc
	s_xor_b64 s[2:3], exec, s[2:3]
; %bb.45:
	v_bfe_u32 v5, v17, 16, 1
	s_movk_i32 s14, 0x7fff
	v_add3_u32 v38, v17, v5, s14
; %bb.46:
	s_andn2_saveexec_b64 s[2:3], s[2:3]
; %bb.47:
	v_mov_b32_e32 v5, 0
	v_or_b32_e32 v6, 0x10000, v17
	v_cmp_eq_u32_sdwa vcc, v17, v5 src0_sel:WORD_0 src1_sel:DWORD
	v_cndmask_b32_e32 v38, v6, v17, vcc
; %bb.48:
	s_or_b64 exec, exec, s[2:3]
	s_mov_b32 s2, 0x7f800000
	v_and_b32_e32 v6, 0x7f800000, v18
	v_and_b32_e32 v5, 0xffff0000, v38
	v_cmp_ne_u32_e32 vcc, s2, v6
                                        ; implicit-def: $vgpr39
	s_and_saveexec_b64 s[2:3], vcc
	s_xor_b64 s[2:3], exec, s[2:3]
; %bb.49:
	v_bfe_u32 v6, v18, 16, 1
	s_movk_i32 s14, 0x7fff
	v_add3_u32 v39, v18, v6, s14
; %bb.50:
	s_andn2_saveexec_b64 s[2:3], s[2:3]
; %bb.51:
	v_mov_b32_e32 v6, 0
	v_or_b32_e32 v7, 0x10000, v18
	v_cmp_eq_u32_sdwa vcc, v18, v6 src0_sel:WORD_0 src1_sel:DWORD
	v_cndmask_b32_e32 v39, v7, v18, vcc
; %bb.52:
	s_or_b64 exec, exec, s[2:3]
	s_mov_b32 s2, 0x7f800000
	v_and_b32_e32 v7, 0x7f800000, v19
	v_and_b32_e32 v6, 0xffff0000, v39
	v_cmp_ne_u32_e32 vcc, s2, v7
                                        ; implicit-def: $vgpr40
	s_and_saveexec_b64 s[2:3], vcc
	s_xor_b64 s[2:3], exec, s[2:3]
; %bb.53:
	v_bfe_u32 v7, v19, 16, 1
	s_movk_i32 s14, 0x7fff
	v_add3_u32 v40, v19, v7, s14
; %bb.54:
	s_andn2_saveexec_b64 s[2:3], s[2:3]
; %bb.55:
	v_mov_b32_e32 v7, 0
	v_or_b32_e32 v8, 0x10000, v19
	v_cmp_eq_u32_sdwa vcc, v19, v7 src0_sel:WORD_0 src1_sel:DWORD
	v_cndmask_b32_e32 v40, v8, v19, vcc
; %bb.56:
	s_or_b64 exec, exec, s[2:3]
	s_mov_b32 s2, 0x7f800000
	v_and_b32_e32 v8, 0x7f800000, v20
	v_and_b32_e32 v7, 0xffff0000, v40
	v_cmp_ne_u32_e32 vcc, s2, v8
                                        ; implicit-def: $vgpr41
	s_and_saveexec_b64 s[2:3], vcc
	s_xor_b64 s[2:3], exec, s[2:3]
; %bb.57:
	v_bfe_u32 v8, v20, 16, 1
	s_movk_i32 s14, 0x7fff
	v_add3_u32 v41, v20, v8, s14
; %bb.58:
	s_andn2_saveexec_b64 s[2:3], s[2:3]
; %bb.59:
	v_mov_b32_e32 v8, 0
	v_or_b32_e32 v9, 0x10000, v20
	v_cmp_eq_u32_sdwa vcc, v20, v8 src0_sel:WORD_0 src1_sel:DWORD
	v_cndmask_b32_e32 v41, v9, v20, vcc
; %bb.60:
	s_or_b64 exec, exec, s[2:3]
	s_mov_b32 s2, 0x7f800000
	v_and_b32_e32 v9, 0x7f800000, v21
	v_and_b32_e32 v8, 0xffff0000, v41
	v_cmp_ne_u32_e32 vcc, s2, v9
                                        ; implicit-def: $vgpr42
	s_and_saveexec_b64 s[2:3], vcc
	s_xor_b64 s[2:3], exec, s[2:3]
; %bb.61:
	v_bfe_u32 v9, v21, 16, 1
	s_movk_i32 s14, 0x7fff
	v_add3_u32 v42, v21, v9, s14
; %bb.62:
	s_andn2_saveexec_b64 s[2:3], s[2:3]
; %bb.63:
	v_mov_b32_e32 v9, 0
	v_or_b32_e32 v10, 0x10000, v21
	v_cmp_eq_u32_sdwa vcc, v21, v9 src0_sel:WORD_0 src1_sel:DWORD
	v_cndmask_b32_e32 v42, v10, v21, vcc
; %bb.64:
	s_or_b64 exec, exec, s[2:3]
	s_mov_b32 s2, 0x7f800000
	v_and_b32_e32 v10, 0x7f800000, v22
	v_and_b32_e32 v9, 0xffff0000, v42
	v_cmp_ne_u32_e32 vcc, s2, v10
                                        ; implicit-def: $vgpr43
	s_and_saveexec_b64 s[2:3], vcc
	s_xor_b64 s[2:3], exec, s[2:3]
; %bb.65:
	v_bfe_u32 v10, v22, 16, 1
	s_movk_i32 s14, 0x7fff
	v_add3_u32 v43, v22, v10, s14
; %bb.66:
	s_andn2_saveexec_b64 s[2:3], s[2:3]
; %bb.67:
	v_mov_b32_e32 v10, 0
	v_or_b32_e32 v11, 0x10000, v22
	v_cmp_eq_u32_sdwa vcc, v22, v10 src0_sel:WORD_0 src1_sel:DWORD
	v_cndmask_b32_e32 v43, v11, v22, vcc
; %bb.68:
	s_or_b64 exec, exec, s[2:3]
	s_mov_b32 s2, 0x7f800000
	v_and_b32_e32 v11, 0x7f800000, v23
	v_and_b32_e32 v10, 0xffff0000, v43
	v_cmp_ne_u32_e32 vcc, s2, v11
                                        ; implicit-def: $vgpr44
	s_and_saveexec_b64 s[2:3], vcc
	s_xor_b64 s[2:3], exec, s[2:3]
; %bb.69:
	v_bfe_u32 v11, v23, 16, 1
	s_movk_i32 s14, 0x7fff
	v_add3_u32 v44, v23, v11, s14
; %bb.70:
	s_andn2_saveexec_b64 s[2:3], s[2:3]
; %bb.71:
	v_mov_b32_e32 v11, 0
	v_or_b32_e32 v12, 0x10000, v23
	v_cmp_eq_u32_sdwa vcc, v23, v11 src0_sel:WORD_0 src1_sel:DWORD
	v_cndmask_b32_e32 v44, v12, v23, vcc
; %bb.72:
	s_or_b64 exec, exec, s[2:3]
	s_mov_b32 s2, 0x7f800000
	v_and_b32_e32 v12, 0x7f800000, v24
	v_and_b32_e32 v11, 0xffff0000, v44
	v_cmp_ne_u32_e32 vcc, s2, v12
                                        ; implicit-def: $vgpr45
	s_and_saveexec_b64 s[2:3], vcc
	s_xor_b64 s[2:3], exec, s[2:3]
; %bb.73:
	v_bfe_u32 v12, v24, 16, 1
	s_movk_i32 s14, 0x7fff
	v_add3_u32 v45, v24, v12, s14
; %bb.74:
	s_andn2_saveexec_b64 s[2:3], s[2:3]
; %bb.75:
	v_mov_b32_e32 v12, 0
	v_or_b32_e32 v13, 0x10000, v24
	v_cmp_eq_u32_sdwa vcc, v24, v12 src0_sel:WORD_0 src1_sel:DWORD
	v_cndmask_b32_e32 v45, v13, v24, vcc
; %bb.76:
	s_or_b64 exec, exec, s[2:3]
	s_mov_b32 s2, 0x7f800000
	v_and_b32_e32 v12, 0x7f800000, v25
	v_cmp_ne_u32_e32 vcc, s2, v12
                                        ; implicit-def: $vgpr48
	s_and_saveexec_b64 s[2:3], vcc
	s_xor_b64 s[2:3], exec, s[2:3]
; %bb.77:
	v_bfe_u32 v12, v25, 16, 1
	s_movk_i32 s14, 0x7fff
	v_add3_u32 v48, v25, v12, s14
; %bb.78:
	s_andn2_saveexec_b64 s[2:3], s[2:3]
; %bb.79:
	v_mov_b32_e32 v12, 0
	v_or_b32_e32 v13, 0x10000, v25
	v_cmp_eq_u32_sdwa vcc, v25, v12 src0_sel:WORD_0 src1_sel:DWORD
	v_cndmask_b32_e32 v48, v13, v25, vcc
; %bb.80:
	s_or_b64 exec, exec, s[2:3]
	s_mov_b32 s2, 0x7f800000
	v_and_b32_e32 v12, 0x7f800000, v26
	v_cmp_ne_u32_e32 vcc, s2, v12
                                        ; implicit-def: $vgpr49
	s_and_saveexec_b64 s[2:3], vcc
	s_xor_b64 s[2:3], exec, s[2:3]
; %bb.81:
	v_bfe_u32 v12, v26, 16, 1
	s_movk_i32 s14, 0x7fff
	v_add3_u32 v49, v26, v12, s14
; %bb.82:
	s_andn2_saveexec_b64 s[2:3], s[2:3]
; %bb.83:
	v_mov_b32_e32 v12, 0
	v_or_b32_e32 v13, 0x10000, v26
	v_cmp_eq_u32_sdwa vcc, v26, v12 src0_sel:WORD_0 src1_sel:DWORD
	v_cndmask_b32_e32 v49, v13, v26, vcc
; %bb.84:
	s_or_b64 exec, exec, s[2:3]
	s_mov_b32 s2, 0x7f800000
	v_and_b32_e32 v12, 0x7f800000, v27
	v_cmp_ne_u32_e32 vcc, s2, v12
                                        ; implicit-def: $vgpr50
	s_and_saveexec_b64 s[2:3], vcc
	s_xor_b64 s[2:3], exec, s[2:3]
; %bb.85:
	v_bfe_u32 v12, v27, 16, 1
	s_movk_i32 s14, 0x7fff
	v_add3_u32 v50, v27, v12, s14
                                        ; implicit-def: $vgpr12_vgpr13_vgpr14_vgpr15_vgpr16_vgpr17_vgpr18_vgpr19_vgpr20_vgpr21_vgpr22_vgpr23_vgpr24_vgpr25_vgpr26_vgpr27
; %bb.86:
	s_andn2_saveexec_b64 s[2:3], s[2:3]
; %bb.87:
	v_mov_b32_e32 v12, 0
	v_or_b32_e32 v13, 0x10000, v27
	v_cmp_eq_u32_sdwa vcc, v27, v12 src0_sel:WORD_0 src1_sel:DWORD
	v_cndmask_b32_e32 v50, v13, v27, vcc
; %bb.88:
	s_or_b64 exec, exec, s[2:3]
	v_mul_lo_u32 v14, v33, s20
	v_mul_lo_u32 v15, v32, s22
	v_mad_u64_u32 v[12:13], s[2:3], v32, s20, 0
	v_add3_u32 v13, v13, v15, v14
	v_sub_co_u32_e32 v14, vcc, v30, v12
	v_subb_co_u32_e32 v15, vcc, v31, v13, vcc
	s_ashr_i32 s14, s21, 31
	v_pk_mov_b32 v[12:13], s[8:9], s[8:9] op_sel:[0,1]
	v_mad_u64_u32 v[16:17], s[2:3], v32, s21, v[12:13]
	v_mul_lo_u32 v12, v33, s21
	v_mul_lo_u32 v13, v32, s14
	v_add3_u32 v17, v12, v17, v13
	s_movk_i32 s8, 0x240
	v_mad_u64_u32 v[12:13], s[2:3], v14, s8, v[16:17]
	v_mov_b32_e32 v18, v13
	v_mad_u64_u32 v[18:19], s[2:3], v15, s8, v[18:19]
	v_mov_b32_e32 v13, v18
	v_max3_f32 v18, |v28|, 0, |v1|
	v_max3_f32 v18, v18, |v2|, |v3|
	v_mbcnt_lo_u32_b32 v19, -1, 0
	v_max3_f32 v18, v18, |v4|, |v5|
	v_mbcnt_hi_u32_b32 v19, -1, v19
	v_max3_f32 v18, v18, |v6|, |v7|
	v_and_b32_e32 v20, 64, v19
	v_max3_f32 v18, v18, |v8|, |v9|
	v_add_u32_e32 v20, 64, v20
	v_xor_b32_e32 v21, 1, v19
	v_max3_f32 v18, v18, |v10|, |v11|
	v_and_b32_e32 v26, 0xffff0000, v48
	v_and_b32_e32 v27, 0xffff0000, v45
	v_cmp_lt_i32_e32 vcc, v21, v20
	v_max3_f32 v18, v18, |v27|, |v26|
	v_and_b32_e32 v24, 0xffff0000, v49
	v_and_b32_e32 v22, 0xffff0000, v50
	v_cndmask_b32_e32 v21, v19, v21, vcc
	v_max3_f32 v18, v18, |v24|, |v22|
	v_lshlrev_b32_e32 v21, 2, v21
	ds_bpermute_b32 v21, v21, v18
	s_waitcnt lgkmcnt(0)
	v_max_f32_e32 v21, v21, v21
	v_max_f32_e32 v18, v18, v21
	v_xor_b32_e32 v21, 2, v19
	v_cmp_lt_i32_e32 vcc, v21, v20
	v_cndmask_b32_e32 v19, v19, v21, vcc
	v_lshlrev_b32_e32 v19, 2, v19
	ds_bpermute_b32 v19, v19, v18
	s_and_saveexec_b64 s[2:3], s[0:1]
	s_xor_b64 s[2:3], exec, s[2:3]
	s_cbranch_execz .LBB9_350
; %bb.89:
	s_mov_b32 s0, 0x38d1b717
	s_waitcnt lgkmcnt(0)
	v_max3_f32 v18, v18, v19, s0
	s_mov_b32 s8, 0x43e00000
	v_div_scale_f32 v19, s[0:1], s8, s8, v18
	v_rcp_f32_e32 v20, v19
	s_mov_b32 s0, 0x800000
	v_fma_f32 v21, -v19, v20, 1.0
	v_fmac_f32_e32 v20, v21, v20
	v_div_scale_f32 v21, vcc, v18, s8, v18
	v_mul_f32_e32 v23, v21, v20
	v_fma_f32 v25, -v19, v23, v21
	v_fmac_f32_e32 v23, v25, v20
	v_fma_f32 v19, -v19, v23, v21
	v_div_fmas_f32 v19, v19, v20, v23
	v_div_fixup_f32 v18, v19, s8, v18
	v_mov_b32_e32 v19, 0x4f800000
	v_cmp_gt_f32_e32 vcc, s0, v18
	v_cndmask_b32_e32 v19, 1.0, v19, vcc
	v_mul_f32_e32 v18, v18, v19
	v_log_f32_e32 v18, v18
	v_mov_b32_e32 v19, 0x42000000
	v_cndmask_b32_e32 v19, 0, v19, vcc
	s_mov_b32 s0, 0x42fc0000
	v_sub_f32_e32 v18, v18, v19
	v_ceil_f32_e32 v20, v18
	v_mov_b32_e32 v18, 0x42800000
	v_cmp_lt_f32_e32 vcc, s0, v20
	v_cndmask_b32_e32 v18, 0, v18, vcc
	v_sub_f32_e32 v18, v18, v20
	v_exp_f32_e32 v18, v18
	v_mov_b32_e32 v19, 0x1f800000
	v_cndmask_b32_e32 v19, 1.0, v19, vcc
	s_movk_i32 s0, 0x80
	v_mul_f32_e32 v23, v18, v19
	v_mul_f32_e32 v18, v23, v28
	v_max_f32_e32 v18, 0xc3e00000, v18
	v_min_f32_e32 v28, 0x43e00000, v18
	v_mov_b32_e32 v19, 0
	v_and_b32_sdwa v25, v28, s0 dst_sel:DWORD dst_unused:UNUSED_PAD src0_sel:BYTE_3 src1_sel:DWORD
	v_and_b32_e32 v30, 0x7f800000, v28
	v_mov_b32_e32 v31, v19
	s_mov_b64 s[0:1], 0x7f800000
	v_and_b32_e32 v18, 0x7fffff, v28
	v_or_b32_e32 v21, 0x7e, v25
	v_cmp_ne_u64_e32 vcc, s[0:1], v[30:31]
	s_and_saveexec_b64 s[0:1], vcc
	s_xor_b64 s[8:9], exec, s[0:1]
	s_cbranch_execz .LBB9_103
; %bb.90:
	v_and_b32_e32 v30, 0x7fffffff, v28
	v_mov_b32_e32 v31, v19
	s_mov_b64 s[0:1], 0x43e00001
	v_cmp_gt_u64_e32 vcc, s[0:1], v[30:31]
	s_and_saveexec_b64 s[0:1], vcc
	s_xor_b64 s[14:15], exec, s[0:1]
	s_cbranch_execz .LBB9_102
; %bb.91:
	v_cmp_ne_u32_e32 vcc, 0, v28
	v_mov_b32_e32 v21, 0
	s_and_saveexec_b64 s[16:17], vcc
	s_cbranch_execz .LBB9_101
; %bb.92:
	v_bfe_u32 v21, v28, 23, 8
	s_movk_i32 s0, 0x7a
	v_sub_u32_e32 v29, 0x79, v21
	v_cmp_gt_u32_e32 vcc, s0, v21
	v_add_u32_e32 v28, 0xffffff81, v21
	v_cndmask_b32_e32 v29, 0, v29, vcc
	v_mov_b32_e32 v31, 0xffffff82
	v_cmp_eq_u32_e32 vcc, 0, v21
	v_cndmask_b32_e32 v21, v28, v31, vcc
	v_mov_b32_e32 v28, 0x78
	v_cndmask_b32_e32 v34, v29, v28, vcc
	v_add_u32_e32 v28, 20, v34
	v_or_b32_e32 v30, 0x800000, v18
	v_lshlrev_b64 v[28:29], v28, -1
	v_cndmask_b32_e32 v18, v30, v18, vcc
	v_not_b32_e32 v28, v28
	v_and_b32_e32 v30, v18, v28
	v_add_u32_e32 v28, 19, v34
	v_lshrrev_b64 v[18:19], v34, v[18:19]
	v_not_b32_e32 v29, v29
	v_lshlrev_b64 v[32:33], v28, 1
	v_lshrrev_b32_e32 v28, 23, v18
	v_and_b32_e32 v31, 0, v29
	v_add3_u32 v29, v34, v21, v28
	v_bfe_u32 v28, v18, 20, 1
	v_add_u32_e32 v28, -1, v28
	v_cmp_eq_u64_e32 vcc, v[30:31], v[32:33]
	v_cndmask_b32_e32 v28, 0, v28, vcc
	v_add_u32_e32 v28, v28, v18
	v_and_b32_e32 v28, 0xfffff, v28
	v_add_co_u32_e32 v18, vcc, v28, v18
	v_add_u32_e32 v21, 6, v29
	v_addc_co_u32_e32 v19, vcc, 0, v19, vcc
	v_cmp_ne_u32_e32 vcc, 0, v21
                                        ; implicit-def: $vgpr28
	s_and_saveexec_b64 s[0:1], vcc
	s_xor_b64 s[0:1], exec, s[0:1]
; %bb.93:
	s_mov_b64 s[18:19], 0xffffff
	v_add_u32_e32 v28, 7, v29
	v_cmp_lt_u64_e32 vcc, s[18:19], v[18:19]
	v_cndmask_b32_e32 v28, v21, v28, vcc
	v_cndmask_b32_e64 v21, 0, 1, vcc
	v_lshrrev_b64 v[18:19], v21, v[18:19]
; %bb.94:
	s_andn2_saveexec_b64 s[0:1], s[0:1]
; %bb.95:
	v_bfe_u32 v28, v18, 23, 1
; %bb.96:
	s_or_b64 exec, exec, s[0:1]
	v_lshrrev_b64 v[18:19], 20, v[18:19]
	v_cmp_gt_i32_e32 vcc, 16, v28
	v_cndmask_b32_e32 v19, 0, v19, vcc
	v_cndmask_b32_e32 v18, 7, v18, vcc
	v_cmp_ne_u32_e32 vcc, 0, v28
	v_cmp_ne_u64_e64 s[0:1], 0, v[18:19]
	s_or_b64 s[0:1], vcc, s[0:1]
                                        ; implicit-def: $vgpr21
	s_and_saveexec_b64 s[18:19], s[0:1]
	s_xor_b64 s[0:1], exec, s[18:19]
; %bb.97:
	v_min_i32_e32 v19, 15, v28
	v_lshl_or_b32 v19, v19, 3, v25
	v_and_or_b32 v21, v18, 7, v19
                                        ; implicit-def: $vgpr25
; %bb.98:
	s_andn2_saveexec_b64 s[0:1], s[0:1]
; %bb.99:
	v_mov_b32_e32 v21, v25
; %bb.100:
	s_or_b64 exec, exec, s[0:1]
.LBB9_101:
	s_or_b64 exec, exec, s[16:17]
.LBB9_102:
	s_andn2_saveexec_b64 s[0:1], s[14:15]
	s_or_b64 exec, exec, s[0:1]
                                        ; implicit-def: $vgpr28
                                        ; implicit-def: $vgpr18_vgpr19
.LBB9_103:
	s_andn2_saveexec_b64 s[0:1], s[8:9]
; %bb.104:
	s_movk_i32 s8, 0x7f
	v_or_b32_sdwa v25, v28, s8 dst_sel:DWORD dst_unused:UNUSED_PAD src0_sel:BYTE_3 src1_sel:DWORD
	v_cmp_eq_u64_e32 vcc, 0, v[18:19]
	v_cndmask_b32_e32 v21, v25, v21, vcc
; %bb.105:
	s_or_b64 exec, exec, s[0:1]
	v_mul_f32_e32 v1, v23, v1
	v_max_f32_e32 v1, 0xc3e00000, v1
	v_min_f32_e32 v28, 0x43e00000, v1
	v_mov_b32_e32 v19, 0
	s_movk_i32 s0, 0x80
	v_and_b32_sdwa v25, v28, s0 dst_sel:DWORD dst_unused:UNUSED_PAD src0_sel:BYTE_3 src1_sel:DWORD
	v_and_b32_e32 v30, 0x7f800000, v28
	v_mov_b32_e32 v31, v19
	s_mov_b64 s[0:1], 0x7f800000
	v_and_b32_e32 v18, 0x7fffff, v28
	v_or_b32_e32 v1, 0x7e, v25
	v_cmp_ne_u64_e32 vcc, s[0:1], v[30:31]
	s_and_saveexec_b64 s[0:1], vcc
	s_xor_b64 s[8:9], exec, s[0:1]
	s_cbranch_execz .LBB9_119
; %bb.106:
	v_and_b32_e32 v30, 0x7fffffff, v28
	v_mov_b32_e32 v31, v19
	s_mov_b64 s[0:1], 0x43e00001
	v_cmp_gt_u64_e32 vcc, s[0:1], v[30:31]
	s_and_saveexec_b64 s[0:1], vcc
	s_xor_b64 s[14:15], exec, s[0:1]
	s_cbranch_execz .LBB9_118
; %bb.107:
	v_cmp_ne_u32_e32 vcc, 0, v28
	v_mov_b32_e32 v1, 0
	s_and_saveexec_b64 s[16:17], vcc
	s_cbranch_execz .LBB9_117
; %bb.108:
	v_bfe_u32 v1, v28, 23, 8
	s_movk_i32 s0, 0x7a
	v_sub_u32_e32 v29, 0x79, v1
	v_cmp_gt_u32_e32 vcc, s0, v1
	v_add_u32_e32 v28, 0xffffff81, v1
	v_cndmask_b32_e32 v29, 0, v29, vcc
	v_mov_b32_e32 v31, 0xffffff82
	v_cmp_eq_u32_e32 vcc, 0, v1
	v_cndmask_b32_e32 v1, v28, v31, vcc
	v_mov_b32_e32 v28, 0x78
	v_cndmask_b32_e32 v34, v29, v28, vcc
	v_add_u32_e32 v28, 20, v34
	v_or_b32_e32 v30, 0x800000, v18
	v_lshlrev_b64 v[28:29], v28, -1
	v_cndmask_b32_e32 v18, v30, v18, vcc
	v_not_b32_e32 v28, v28
	v_and_b32_e32 v30, v18, v28
	v_add_u32_e32 v28, 19, v34
	v_lshrrev_b64 v[18:19], v34, v[18:19]
	v_not_b32_e32 v29, v29
	v_lshlrev_b64 v[32:33], v28, 1
	v_lshrrev_b32_e32 v28, 23, v18
	v_and_b32_e32 v31, 0, v29
	v_add3_u32 v29, v34, v1, v28
	v_bfe_u32 v28, v18, 20, 1
	v_add_u32_e32 v28, -1, v28
	v_cmp_eq_u64_e32 vcc, v[30:31], v[32:33]
	v_cndmask_b32_e32 v28, 0, v28, vcc
	v_add_u32_e32 v28, v28, v18
	v_and_b32_e32 v28, 0xfffff, v28
	v_add_co_u32_e32 v18, vcc, v28, v18
	v_add_u32_e32 v1, 6, v29
	v_addc_co_u32_e32 v19, vcc, 0, v19, vcc
	v_cmp_ne_u32_e32 vcc, 0, v1
                                        ; implicit-def: $vgpr28
	s_and_saveexec_b64 s[0:1], vcc
	s_xor_b64 s[0:1], exec, s[0:1]
; %bb.109:
	s_mov_b64 s[18:19], 0xffffff
	v_add_u32_e32 v28, 7, v29
	v_cmp_lt_u64_e32 vcc, s[18:19], v[18:19]
	v_cndmask_b32_e32 v28, v1, v28, vcc
	v_cndmask_b32_e64 v1, 0, 1, vcc
	v_lshrrev_b64 v[18:19], v1, v[18:19]
; %bb.110:
	s_andn2_saveexec_b64 s[0:1], s[0:1]
; %bb.111:
	v_bfe_u32 v28, v18, 23, 1
; %bb.112:
	s_or_b64 exec, exec, s[0:1]
	v_lshrrev_b64 v[18:19], 20, v[18:19]
	v_cmp_gt_i32_e32 vcc, 16, v28
	v_cndmask_b32_e32 v19, 0, v19, vcc
	v_cndmask_b32_e32 v18, 7, v18, vcc
	v_cmp_ne_u32_e32 vcc, 0, v28
	v_cmp_ne_u64_e64 s[0:1], 0, v[18:19]
	s_or_b64 s[0:1], vcc, s[0:1]
                                        ; implicit-def: $vgpr1
	s_and_saveexec_b64 s[18:19], s[0:1]
	s_xor_b64 s[0:1], exec, s[18:19]
; %bb.113:
	v_min_i32_e32 v1, 15, v28
	v_lshl_or_b32 v1, v1, 3, v25
	v_and_or_b32 v1, v18, 7, v1
                                        ; implicit-def: $vgpr25
; %bb.114:
	s_andn2_saveexec_b64 s[0:1], s[0:1]
; %bb.115:
	v_mov_b32_e32 v1, v25
; %bb.116:
	s_or_b64 exec, exec, s[0:1]
.LBB9_117:
	s_or_b64 exec, exec, s[16:17]
.LBB9_118:
	s_andn2_saveexec_b64 s[0:1], s[14:15]
	s_or_b64 exec, exec, s[0:1]
                                        ; implicit-def: $vgpr28
                                        ; implicit-def: $vgpr18_vgpr19
.LBB9_119:
	s_andn2_saveexec_b64 s[0:1], s[8:9]
; %bb.120:
	s_movk_i32 s8, 0x7f
	v_or_b32_sdwa v25, v28, s8 dst_sel:DWORD dst_unused:UNUSED_PAD src0_sel:BYTE_3 src1_sel:DWORD
	v_cmp_eq_u64_e32 vcc, 0, v[18:19]
	v_cndmask_b32_e32 v1, v25, v1, vcc
; %bb.121:
	s_or_b64 exec, exec, s[0:1]
	v_mul_f32_e32 v2, v23, v2
	v_max_f32_e32 v2, 0xc3e00000, v2
	v_min_f32_e32 v28, 0x43e00000, v2
	v_mov_b32_e32 v19, 0
	s_movk_i32 s0, 0x80
	v_and_b32_sdwa v2, v28, s0 dst_sel:DWORD dst_unused:UNUSED_PAD src0_sel:BYTE_3 src1_sel:DWORD
	v_and_b32_e32 v30, 0x7f800000, v28
	v_mov_b32_e32 v31, v19
	s_mov_b64 s[0:1], 0x7f800000
	v_and_b32_e32 v18, 0x7fffff, v28
	v_or_b32_e32 v25, 0x7e, v2
	v_cmp_ne_u64_e32 vcc, s[0:1], v[30:31]
	s_and_saveexec_b64 s[0:1], vcc
	s_xor_b64 s[8:9], exec, s[0:1]
	s_cbranch_execz .LBB9_135
; %bb.122:
	v_and_b32_e32 v30, 0x7fffffff, v28
	v_mov_b32_e32 v31, v19
	s_mov_b64 s[0:1], 0x43e00001
	v_cmp_gt_u64_e32 vcc, s[0:1], v[30:31]
	s_and_saveexec_b64 s[0:1], vcc
	s_xor_b64 s[14:15], exec, s[0:1]
	s_cbranch_execz .LBB9_134
; %bb.123:
	v_cmp_ne_u32_e32 vcc, 0, v28
	v_mov_b32_e32 v25, 0
	s_and_saveexec_b64 s[16:17], vcc
	s_cbranch_execz .LBB9_133
; %bb.124:
	v_bfe_u32 v25, v28, 23, 8
	s_movk_i32 s0, 0x7a
	v_sub_u32_e32 v29, 0x79, v25
	v_cmp_gt_u32_e32 vcc, s0, v25
	v_add_u32_e32 v28, 0xffffff81, v25
	v_cndmask_b32_e32 v29, 0, v29, vcc
	v_mov_b32_e32 v31, 0xffffff82
	v_cmp_eq_u32_e32 vcc, 0, v25
	v_cndmask_b32_e32 v25, v28, v31, vcc
	v_mov_b32_e32 v28, 0x78
	v_cndmask_b32_e32 v34, v29, v28, vcc
	v_add_u32_e32 v28, 20, v34
	v_or_b32_e32 v30, 0x800000, v18
	v_lshlrev_b64 v[28:29], v28, -1
	v_cndmask_b32_e32 v18, v30, v18, vcc
	v_not_b32_e32 v28, v28
	v_and_b32_e32 v30, v18, v28
	v_add_u32_e32 v28, 19, v34
	v_lshrrev_b64 v[18:19], v34, v[18:19]
	v_not_b32_e32 v29, v29
	v_lshlrev_b64 v[32:33], v28, 1
	v_lshrrev_b32_e32 v28, 23, v18
	v_and_b32_e32 v31, 0, v29
	v_add3_u32 v29, v34, v25, v28
	v_bfe_u32 v28, v18, 20, 1
	v_add_u32_e32 v28, -1, v28
	v_cmp_eq_u64_e32 vcc, v[30:31], v[32:33]
	v_cndmask_b32_e32 v28, 0, v28, vcc
	v_add_u32_e32 v28, v28, v18
	v_and_b32_e32 v28, 0xfffff, v28
	v_add_co_u32_e32 v18, vcc, v28, v18
	v_add_u32_e32 v25, 6, v29
	v_addc_co_u32_e32 v19, vcc, 0, v19, vcc
	v_cmp_ne_u32_e32 vcc, 0, v25
                                        ; implicit-def: $vgpr28
	s_and_saveexec_b64 s[0:1], vcc
	s_xor_b64 s[0:1], exec, s[0:1]
; %bb.125:
	s_mov_b64 s[18:19], 0xffffff
	v_add_u32_e32 v28, 7, v29
	v_cmp_lt_u64_e32 vcc, s[18:19], v[18:19]
	v_cndmask_b32_e32 v28, v25, v28, vcc
	v_cndmask_b32_e64 v25, 0, 1, vcc
	v_lshrrev_b64 v[18:19], v25, v[18:19]
; %bb.126:
	s_andn2_saveexec_b64 s[0:1], s[0:1]
; %bb.127:
	v_bfe_u32 v28, v18, 23, 1
; %bb.128:
	s_or_b64 exec, exec, s[0:1]
	v_lshrrev_b64 v[18:19], 20, v[18:19]
	v_cmp_gt_i32_e32 vcc, 16, v28
	v_cndmask_b32_e32 v19, 0, v19, vcc
	v_cndmask_b32_e32 v18, 7, v18, vcc
	v_cmp_ne_u32_e32 vcc, 0, v28
	v_cmp_ne_u64_e64 s[0:1], 0, v[18:19]
	s_or_b64 s[0:1], vcc, s[0:1]
                                        ; implicit-def: $vgpr25
	s_and_saveexec_b64 s[18:19], s[0:1]
	s_xor_b64 s[0:1], exec, s[18:19]
; %bb.129:
	v_min_i32_e32 v19, 15, v28
	v_lshl_or_b32 v2, v19, 3, v2
	v_and_or_b32 v25, v18, 7, v2
                                        ; implicit-def: $vgpr2
; %bb.130:
	s_andn2_saveexec_b64 s[0:1], s[0:1]
; %bb.131:
	v_mov_b32_e32 v25, v2
; %bb.132:
	s_or_b64 exec, exec, s[0:1]
.LBB9_133:
	s_or_b64 exec, exec, s[16:17]
.LBB9_134:
	s_andn2_saveexec_b64 s[0:1], s[14:15]
	s_or_b64 exec, exec, s[0:1]
                                        ; implicit-def: $vgpr28
                                        ; implicit-def: $vgpr18_vgpr19
.LBB9_135:
	s_andn2_saveexec_b64 s[0:1], s[8:9]
; %bb.136:
	s_movk_i32 s8, 0x7f
	v_or_b32_sdwa v2, v28, s8 dst_sel:DWORD dst_unused:UNUSED_PAD src0_sel:BYTE_3 src1_sel:DWORD
	v_cmp_eq_u64_e32 vcc, 0, v[18:19]
	v_cndmask_b32_e32 v25, v2, v25, vcc
; %bb.137:
	s_or_b64 exec, exec, s[0:1]
	v_mul_f32_e32 v2, v23, v3
	v_max_f32_e32 v2, 0xc3e00000, v2
	v_min_f32_e32 v28, 0x43e00000, v2
	v_mov_b32_e32 v3, 0
	s_movk_i32 s0, 0x80
	v_and_b32_sdwa v19, v28, s0 dst_sel:DWORD dst_unused:UNUSED_PAD src0_sel:BYTE_3 src1_sel:DWORD
	v_and_b32_e32 v30, 0x7f800000, v28
	v_mov_b32_e32 v31, v3
	s_mov_b64 s[0:1], 0x7f800000
	v_and_b32_e32 v2, 0x7fffff, v28
	v_or_b32_e32 v18, 0x7e, v19
	v_cmp_ne_u64_e32 vcc, s[0:1], v[30:31]
	s_and_saveexec_b64 s[0:1], vcc
	s_xor_b64 s[8:9], exec, s[0:1]
	s_cbranch_execz .LBB9_151
; %bb.138:
	v_and_b32_e32 v30, 0x7fffffff, v28
	v_mov_b32_e32 v31, v3
	s_mov_b64 s[0:1], 0x43e00001
	v_cmp_gt_u64_e32 vcc, s[0:1], v[30:31]
	s_and_saveexec_b64 s[0:1], vcc
	s_xor_b64 s[14:15], exec, s[0:1]
	s_cbranch_execz .LBB9_150
; %bb.139:
	v_cmp_ne_u32_e32 vcc, 0, v28
	v_mov_b32_e32 v18, 0
	s_and_saveexec_b64 s[16:17], vcc
	s_cbranch_execz .LBB9_149
; %bb.140:
	v_bfe_u32 v18, v28, 23, 8
	s_movk_i32 s0, 0x7a
	v_sub_u32_e32 v29, 0x79, v18
	v_cmp_gt_u32_e32 vcc, s0, v18
	v_add_u32_e32 v28, 0xffffff81, v18
	v_cndmask_b32_e32 v29, 0, v29, vcc
	v_mov_b32_e32 v31, 0xffffff82
	v_cmp_eq_u32_e32 vcc, 0, v18
	v_cndmask_b32_e32 v18, v28, v31, vcc
	v_mov_b32_e32 v28, 0x78
	v_cndmask_b32_e32 v34, v29, v28, vcc
	v_add_u32_e32 v28, 20, v34
	v_or_b32_e32 v30, 0x800000, v2
	v_lshlrev_b64 v[28:29], v28, -1
	v_cndmask_b32_e32 v2, v30, v2, vcc
	v_not_b32_e32 v28, v28
	v_and_b32_e32 v30, v2, v28
	v_add_u32_e32 v28, 19, v34
	v_lshrrev_b64 v[2:3], v34, v[2:3]
	v_not_b32_e32 v29, v29
	v_lshlrev_b64 v[32:33], v28, 1
	v_lshrrev_b32_e32 v28, 23, v2
	v_and_b32_e32 v31, 0, v29
	v_add3_u32 v29, v34, v18, v28
	v_bfe_u32 v28, v2, 20, 1
	v_add_u32_e32 v28, -1, v28
	v_cmp_eq_u64_e32 vcc, v[30:31], v[32:33]
	v_cndmask_b32_e32 v28, 0, v28, vcc
	v_add_u32_e32 v28, v28, v2
	v_and_b32_e32 v28, 0xfffff, v28
	v_add_co_u32_e32 v2, vcc, v28, v2
	v_add_u32_e32 v18, 6, v29
	v_addc_co_u32_e32 v3, vcc, 0, v3, vcc
	v_cmp_ne_u32_e32 vcc, 0, v18
                                        ; implicit-def: $vgpr28
	s_and_saveexec_b64 s[0:1], vcc
	s_xor_b64 s[0:1], exec, s[0:1]
; %bb.141:
	s_mov_b64 s[18:19], 0xffffff
	v_add_u32_e32 v28, 7, v29
	v_cmp_lt_u64_e32 vcc, s[18:19], v[2:3]
	v_cndmask_b32_e32 v28, v18, v28, vcc
	v_cndmask_b32_e64 v18, 0, 1, vcc
	v_lshrrev_b64 v[2:3], v18, v[2:3]
; %bb.142:
	s_andn2_saveexec_b64 s[0:1], s[0:1]
; %bb.143:
	v_bfe_u32 v28, v2, 23, 1
; %bb.144:
	s_or_b64 exec, exec, s[0:1]
	v_lshrrev_b64 v[2:3], 20, v[2:3]
	v_cmp_gt_i32_e32 vcc, 16, v28
	v_cndmask_b32_e32 v3, 0, v3, vcc
	v_cndmask_b32_e32 v2, 7, v2, vcc
	v_cmp_ne_u32_e32 vcc, 0, v28
	v_cmp_ne_u64_e64 s[0:1], 0, v[2:3]
	s_or_b64 s[0:1], vcc, s[0:1]
                                        ; implicit-def: $vgpr18
	s_and_saveexec_b64 s[18:19], s[0:1]
	s_xor_b64 s[0:1], exec, s[18:19]
; %bb.145:
	v_min_i32_e32 v3, 15, v28
	v_lshl_or_b32 v3, v3, 3, v19
	v_and_or_b32 v18, v2, 7, v3
                                        ; implicit-def: $vgpr19
; %bb.146:
	s_andn2_saveexec_b64 s[0:1], s[0:1]
; %bb.147:
	v_mov_b32_e32 v18, v19
; %bb.148:
	s_or_b64 exec, exec, s[0:1]
.LBB9_149:
	s_or_b64 exec, exec, s[16:17]
.LBB9_150:
	s_andn2_saveexec_b64 s[0:1], s[14:15]
	s_or_b64 exec, exec, s[0:1]
                                        ; implicit-def: $vgpr28
                                        ; implicit-def: $vgpr2_vgpr3
.LBB9_151:
	s_andn2_saveexec_b64 s[0:1], s[8:9]
; %bb.152:
	s_movk_i32 s8, 0x7f
	v_or_b32_sdwa v19, v28, s8 dst_sel:DWORD dst_unused:UNUSED_PAD src0_sel:BYTE_3 src1_sel:DWORD
	v_cmp_eq_u64_e32 vcc, 0, v[2:3]
	v_cndmask_b32_e32 v18, v19, v18, vcc
; %bb.153:
	s_or_b64 exec, exec, s[0:1]
	v_mul_f32_e32 v2, v23, v4
	v_max_f32_e32 v2, 0xc3e00000, v2
	v_min_f32_e32 v28, 0x43e00000, v2
	v_mov_b32_e32 v3, 0
	s_movk_i32 s0, 0x80
	v_and_b32_sdwa v19, v28, s0 dst_sel:DWORD dst_unused:UNUSED_PAD src0_sel:BYTE_3 src1_sel:DWORD
	v_and_b32_e32 v30, 0x7f800000, v28
	v_mov_b32_e32 v31, v3
	s_mov_b64 s[0:1], 0x7f800000
	v_and_b32_e32 v2, 0x7fffff, v28
	v_or_b32_e32 v4, 0x7e, v19
	v_cmp_ne_u64_e32 vcc, s[0:1], v[30:31]
	s_and_saveexec_b64 s[0:1], vcc
	s_xor_b64 s[8:9], exec, s[0:1]
	s_cbranch_execz .LBB9_167
; %bb.154:
	v_and_b32_e32 v30, 0x7fffffff, v28
	v_mov_b32_e32 v31, v3
	s_mov_b64 s[0:1], 0x43e00001
	v_cmp_gt_u64_e32 vcc, s[0:1], v[30:31]
	s_and_saveexec_b64 s[0:1], vcc
	s_xor_b64 s[14:15], exec, s[0:1]
	s_cbranch_execz .LBB9_166
; %bb.155:
	v_cmp_ne_u32_e32 vcc, 0, v28
	v_mov_b32_e32 v4, 0
	s_and_saveexec_b64 s[16:17], vcc
	s_cbranch_execz .LBB9_165
; %bb.156:
	v_bfe_u32 v4, v28, 23, 8
	s_movk_i32 s0, 0x7a
	v_sub_u32_e32 v29, 0x79, v4
	v_cmp_gt_u32_e32 vcc, s0, v4
	v_add_u32_e32 v28, 0xffffff81, v4
	v_cndmask_b32_e32 v29, 0, v29, vcc
	v_mov_b32_e32 v31, 0xffffff82
	v_cmp_eq_u32_e32 vcc, 0, v4
	v_cndmask_b32_e32 v4, v28, v31, vcc
	v_mov_b32_e32 v28, 0x78
	v_cndmask_b32_e32 v34, v29, v28, vcc
	v_add_u32_e32 v28, 20, v34
	v_or_b32_e32 v30, 0x800000, v2
	v_lshlrev_b64 v[28:29], v28, -1
	v_cndmask_b32_e32 v2, v30, v2, vcc
	v_not_b32_e32 v28, v28
	v_and_b32_e32 v30, v2, v28
	v_add_u32_e32 v28, 19, v34
	v_lshrrev_b64 v[2:3], v34, v[2:3]
	v_not_b32_e32 v29, v29
	v_lshlrev_b64 v[32:33], v28, 1
	v_lshrrev_b32_e32 v28, 23, v2
	v_and_b32_e32 v31, 0, v29
	v_add3_u32 v29, v34, v4, v28
	v_bfe_u32 v28, v2, 20, 1
	v_add_u32_e32 v28, -1, v28
	v_cmp_eq_u64_e32 vcc, v[30:31], v[32:33]
	v_cndmask_b32_e32 v28, 0, v28, vcc
	v_add_u32_e32 v28, v28, v2
	v_and_b32_e32 v28, 0xfffff, v28
	v_add_co_u32_e32 v2, vcc, v28, v2
	v_add_u32_e32 v4, 6, v29
	v_addc_co_u32_e32 v3, vcc, 0, v3, vcc
	v_cmp_ne_u32_e32 vcc, 0, v4
                                        ; implicit-def: $vgpr28
	s_and_saveexec_b64 s[0:1], vcc
	s_xor_b64 s[0:1], exec, s[0:1]
; %bb.157:
	s_mov_b64 s[18:19], 0xffffff
	v_add_u32_e32 v28, 7, v29
	v_cmp_lt_u64_e32 vcc, s[18:19], v[2:3]
	v_cndmask_b32_e32 v28, v4, v28, vcc
	v_cndmask_b32_e64 v4, 0, 1, vcc
	v_lshrrev_b64 v[2:3], v4, v[2:3]
; %bb.158:
	s_andn2_saveexec_b64 s[0:1], s[0:1]
; %bb.159:
	v_bfe_u32 v28, v2, 23, 1
; %bb.160:
	s_or_b64 exec, exec, s[0:1]
	v_lshrrev_b64 v[2:3], 20, v[2:3]
	v_cmp_gt_i32_e32 vcc, 16, v28
	v_cndmask_b32_e32 v3, 0, v3, vcc
	v_cndmask_b32_e32 v2, 7, v2, vcc
	v_cmp_ne_u32_e32 vcc, 0, v28
	v_cmp_ne_u64_e64 s[0:1], 0, v[2:3]
	s_or_b64 s[0:1], vcc, s[0:1]
                                        ; implicit-def: $vgpr4
	s_and_saveexec_b64 s[18:19], s[0:1]
	s_xor_b64 s[0:1], exec, s[18:19]
; %bb.161:
	v_min_i32_e32 v3, 15, v28
	v_lshl_or_b32 v3, v3, 3, v19
	v_and_or_b32 v4, v2, 7, v3
                                        ; implicit-def: $vgpr19
; %bb.162:
	s_andn2_saveexec_b64 s[0:1], s[0:1]
; %bb.163:
	v_mov_b32_e32 v4, v19
; %bb.164:
	s_or_b64 exec, exec, s[0:1]
.LBB9_165:
	s_or_b64 exec, exec, s[16:17]
.LBB9_166:
	s_andn2_saveexec_b64 s[0:1], s[14:15]
	s_or_b64 exec, exec, s[0:1]
                                        ; implicit-def: $vgpr28
                                        ; implicit-def: $vgpr2_vgpr3
.LBB9_167:
	s_andn2_saveexec_b64 s[0:1], s[8:9]
; %bb.168:
	s_movk_i32 s8, 0x7f
	v_or_b32_sdwa v19, v28, s8 dst_sel:DWORD dst_unused:UNUSED_PAD src0_sel:BYTE_3 src1_sel:DWORD
	v_cmp_eq_u64_e32 vcc, 0, v[2:3]
	v_cndmask_b32_e32 v4, v19, v4, vcc
; %bb.169:
	s_or_b64 exec, exec, s[0:1]
	v_mul_f32_e32 v2, v23, v5
	v_max_f32_e32 v2, 0xc3e00000, v2
	v_min_f32_e32 v28, 0x43e00000, v2
	v_mov_b32_e32 v3, 0
	s_movk_i32 s0, 0x80
	v_and_b32_sdwa v19, v28, s0 dst_sel:DWORD dst_unused:UNUSED_PAD src0_sel:BYTE_3 src1_sel:DWORD
	v_and_b32_e32 v30, 0x7f800000, v28
	v_mov_b32_e32 v31, v3
	s_mov_b64 s[0:1], 0x7f800000
	v_and_b32_e32 v2, 0x7fffff, v28
	v_or_b32_e32 v5, 0x7e, v19
	v_cmp_ne_u64_e32 vcc, s[0:1], v[30:31]
	s_and_saveexec_b64 s[0:1], vcc
	s_xor_b64 s[8:9], exec, s[0:1]
	s_cbranch_execz .LBB9_183
; %bb.170:
	v_and_b32_e32 v30, 0x7fffffff, v28
	v_mov_b32_e32 v31, v3
	s_mov_b64 s[0:1], 0x43e00001
	v_cmp_gt_u64_e32 vcc, s[0:1], v[30:31]
	s_and_saveexec_b64 s[0:1], vcc
	s_xor_b64 s[14:15], exec, s[0:1]
	s_cbranch_execz .LBB9_182
; %bb.171:
	v_cmp_ne_u32_e32 vcc, 0, v28
	v_mov_b32_e32 v5, 0
	s_and_saveexec_b64 s[16:17], vcc
	s_cbranch_execz .LBB9_181
; %bb.172:
	v_bfe_u32 v5, v28, 23, 8
	s_movk_i32 s0, 0x7a
	v_sub_u32_e32 v29, 0x79, v5
	v_cmp_gt_u32_e32 vcc, s0, v5
	v_add_u32_e32 v28, 0xffffff81, v5
	v_cndmask_b32_e32 v29, 0, v29, vcc
	v_mov_b32_e32 v31, 0xffffff82
	v_cmp_eq_u32_e32 vcc, 0, v5
	v_cndmask_b32_e32 v5, v28, v31, vcc
	v_mov_b32_e32 v28, 0x78
	v_cndmask_b32_e32 v34, v29, v28, vcc
	v_add_u32_e32 v28, 20, v34
	v_or_b32_e32 v30, 0x800000, v2
	v_lshlrev_b64 v[28:29], v28, -1
	v_cndmask_b32_e32 v2, v30, v2, vcc
	v_not_b32_e32 v28, v28
	v_and_b32_e32 v30, v2, v28
	v_add_u32_e32 v28, 19, v34
	v_lshrrev_b64 v[2:3], v34, v[2:3]
	v_not_b32_e32 v29, v29
	v_lshlrev_b64 v[32:33], v28, 1
	v_lshrrev_b32_e32 v28, 23, v2
	v_and_b32_e32 v31, 0, v29
	v_add3_u32 v29, v34, v5, v28
	v_bfe_u32 v28, v2, 20, 1
	v_add_u32_e32 v28, -1, v28
	v_cmp_eq_u64_e32 vcc, v[30:31], v[32:33]
	v_cndmask_b32_e32 v28, 0, v28, vcc
	v_add_u32_e32 v28, v28, v2
	v_and_b32_e32 v28, 0xfffff, v28
	v_add_co_u32_e32 v2, vcc, v28, v2
	v_add_u32_e32 v5, 6, v29
	v_addc_co_u32_e32 v3, vcc, 0, v3, vcc
	v_cmp_ne_u32_e32 vcc, 0, v5
                                        ; implicit-def: $vgpr28
	s_and_saveexec_b64 s[0:1], vcc
	s_xor_b64 s[0:1], exec, s[0:1]
; %bb.173:
	s_mov_b64 s[18:19], 0xffffff
	v_add_u32_e32 v28, 7, v29
	v_cmp_lt_u64_e32 vcc, s[18:19], v[2:3]
	v_cndmask_b32_e32 v28, v5, v28, vcc
	v_cndmask_b32_e64 v5, 0, 1, vcc
	v_lshrrev_b64 v[2:3], v5, v[2:3]
; %bb.174:
	s_andn2_saveexec_b64 s[0:1], s[0:1]
; %bb.175:
	v_bfe_u32 v28, v2, 23, 1
; %bb.176:
	s_or_b64 exec, exec, s[0:1]
	v_lshrrev_b64 v[2:3], 20, v[2:3]
	v_cmp_gt_i32_e32 vcc, 16, v28
	v_cndmask_b32_e32 v3, 0, v3, vcc
	v_cndmask_b32_e32 v2, 7, v2, vcc
	v_cmp_ne_u32_e32 vcc, 0, v28
	v_cmp_ne_u64_e64 s[0:1], 0, v[2:3]
	s_or_b64 s[0:1], vcc, s[0:1]
                                        ; implicit-def: $vgpr5
	s_and_saveexec_b64 s[18:19], s[0:1]
	s_xor_b64 s[0:1], exec, s[18:19]
; %bb.177:
	v_min_i32_e32 v3, 15, v28
	v_lshl_or_b32 v3, v3, 3, v19
	v_and_or_b32 v5, v2, 7, v3
                                        ; implicit-def: $vgpr19
; %bb.178:
	s_andn2_saveexec_b64 s[0:1], s[0:1]
; %bb.179:
	v_mov_b32_e32 v5, v19
; %bb.180:
	s_or_b64 exec, exec, s[0:1]
.LBB9_181:
	s_or_b64 exec, exec, s[16:17]
.LBB9_182:
	s_andn2_saveexec_b64 s[0:1], s[14:15]
	s_or_b64 exec, exec, s[0:1]
                                        ; implicit-def: $vgpr28
                                        ; implicit-def: $vgpr2_vgpr3
.LBB9_183:
	s_andn2_saveexec_b64 s[0:1], s[8:9]
; %bb.184:
	s_movk_i32 s8, 0x7f
	v_or_b32_sdwa v19, v28, s8 dst_sel:DWORD dst_unused:UNUSED_PAD src0_sel:BYTE_3 src1_sel:DWORD
	v_cmp_eq_u64_e32 vcc, 0, v[2:3]
	v_cndmask_b32_e32 v5, v19, v5, vcc
; %bb.185:
	s_or_b64 exec, exec, s[0:1]
	v_mul_f32_e32 v2, v23, v6
	v_max_f32_e32 v2, 0xc3e00000, v2
	v_min_f32_e32 v28, 0x43e00000, v2
	v_mov_b32_e32 v3, 0
	s_movk_i32 s0, 0x80
	v_and_b32_sdwa v19, v28, s0 dst_sel:DWORD dst_unused:UNUSED_PAD src0_sel:BYTE_3 src1_sel:DWORD
	v_and_b32_e32 v30, 0x7f800000, v28
	v_mov_b32_e32 v31, v3
	s_mov_b64 s[0:1], 0x7f800000
	v_and_b32_e32 v2, 0x7fffff, v28
	v_or_b32_e32 v6, 0x7e, v19
	v_cmp_ne_u64_e32 vcc, s[0:1], v[30:31]
	s_and_saveexec_b64 s[0:1], vcc
	s_xor_b64 s[8:9], exec, s[0:1]
	s_cbranch_execz .LBB9_199
; %bb.186:
	v_and_b32_e32 v30, 0x7fffffff, v28
	v_mov_b32_e32 v31, v3
	s_mov_b64 s[0:1], 0x43e00001
	v_cmp_gt_u64_e32 vcc, s[0:1], v[30:31]
	s_and_saveexec_b64 s[0:1], vcc
	s_xor_b64 s[14:15], exec, s[0:1]
	s_cbranch_execz .LBB9_198
; %bb.187:
	v_cmp_ne_u32_e32 vcc, 0, v28
	v_mov_b32_e32 v6, 0
	s_and_saveexec_b64 s[16:17], vcc
	s_cbranch_execz .LBB9_197
; %bb.188:
	v_bfe_u32 v6, v28, 23, 8
	s_movk_i32 s0, 0x7a
	v_sub_u32_e32 v29, 0x79, v6
	v_cmp_gt_u32_e32 vcc, s0, v6
	v_add_u32_e32 v28, 0xffffff81, v6
	v_cndmask_b32_e32 v29, 0, v29, vcc
	v_mov_b32_e32 v31, 0xffffff82
	v_cmp_eq_u32_e32 vcc, 0, v6
	v_cndmask_b32_e32 v6, v28, v31, vcc
	v_mov_b32_e32 v28, 0x78
	v_cndmask_b32_e32 v34, v29, v28, vcc
	v_add_u32_e32 v28, 20, v34
	v_or_b32_e32 v30, 0x800000, v2
	v_lshlrev_b64 v[28:29], v28, -1
	v_cndmask_b32_e32 v2, v30, v2, vcc
	v_not_b32_e32 v28, v28
	v_and_b32_e32 v30, v2, v28
	v_add_u32_e32 v28, 19, v34
	v_lshrrev_b64 v[2:3], v34, v[2:3]
	v_not_b32_e32 v29, v29
	v_lshlrev_b64 v[32:33], v28, 1
	v_lshrrev_b32_e32 v28, 23, v2
	v_and_b32_e32 v31, 0, v29
	v_add3_u32 v29, v34, v6, v28
	v_bfe_u32 v28, v2, 20, 1
	v_add_u32_e32 v28, -1, v28
	v_cmp_eq_u64_e32 vcc, v[30:31], v[32:33]
	v_cndmask_b32_e32 v28, 0, v28, vcc
	v_add_u32_e32 v28, v28, v2
	v_and_b32_e32 v28, 0xfffff, v28
	v_add_co_u32_e32 v2, vcc, v28, v2
	v_add_u32_e32 v6, 6, v29
	v_addc_co_u32_e32 v3, vcc, 0, v3, vcc
	v_cmp_ne_u32_e32 vcc, 0, v6
                                        ; implicit-def: $vgpr28
	s_and_saveexec_b64 s[0:1], vcc
	s_xor_b64 s[0:1], exec, s[0:1]
; %bb.189:
	s_mov_b64 s[18:19], 0xffffff
	v_add_u32_e32 v28, 7, v29
	v_cmp_lt_u64_e32 vcc, s[18:19], v[2:3]
	v_cndmask_b32_e32 v28, v6, v28, vcc
	v_cndmask_b32_e64 v6, 0, 1, vcc
	v_lshrrev_b64 v[2:3], v6, v[2:3]
; %bb.190:
	s_andn2_saveexec_b64 s[0:1], s[0:1]
; %bb.191:
	v_bfe_u32 v28, v2, 23, 1
; %bb.192:
	s_or_b64 exec, exec, s[0:1]
	v_lshrrev_b64 v[2:3], 20, v[2:3]
	v_cmp_gt_i32_e32 vcc, 16, v28
	v_cndmask_b32_e32 v3, 0, v3, vcc
	v_cndmask_b32_e32 v2, 7, v2, vcc
	v_cmp_ne_u32_e32 vcc, 0, v28
	v_cmp_ne_u64_e64 s[0:1], 0, v[2:3]
	s_or_b64 s[0:1], vcc, s[0:1]
                                        ; implicit-def: $vgpr6
	s_and_saveexec_b64 s[18:19], s[0:1]
	s_xor_b64 s[0:1], exec, s[18:19]
; %bb.193:
	v_min_i32_e32 v3, 15, v28
	v_lshl_or_b32 v3, v3, 3, v19
	v_and_or_b32 v6, v2, 7, v3
                                        ; implicit-def: $vgpr19
; %bb.194:
	s_andn2_saveexec_b64 s[0:1], s[0:1]
; %bb.195:
	v_mov_b32_e32 v6, v19
; %bb.196:
	s_or_b64 exec, exec, s[0:1]
.LBB9_197:
	s_or_b64 exec, exec, s[16:17]
.LBB9_198:
	s_andn2_saveexec_b64 s[0:1], s[14:15]
	s_or_b64 exec, exec, s[0:1]
                                        ; implicit-def: $vgpr28
                                        ; implicit-def: $vgpr2_vgpr3
.LBB9_199:
	s_andn2_saveexec_b64 s[0:1], s[8:9]
; %bb.200:
	s_movk_i32 s8, 0x7f
	v_or_b32_sdwa v19, v28, s8 dst_sel:DWORD dst_unused:UNUSED_PAD src0_sel:BYTE_3 src1_sel:DWORD
	v_cmp_eq_u64_e32 vcc, 0, v[2:3]
	v_cndmask_b32_e32 v6, v19, v6, vcc
; %bb.201:
	s_or_b64 exec, exec, s[0:1]
	v_mul_f32_e32 v2, v23, v7
	v_max_f32_e32 v2, 0xc3e00000, v2
	v_min_f32_e32 v28, 0x43e00000, v2
	v_mov_b32_e32 v3, 0
	s_movk_i32 s0, 0x80
	v_and_b32_sdwa v19, v28, s0 dst_sel:DWORD dst_unused:UNUSED_PAD src0_sel:BYTE_3 src1_sel:DWORD
	v_and_b32_e32 v30, 0x7f800000, v28
	v_mov_b32_e32 v31, v3
	s_mov_b64 s[0:1], 0x7f800000
	v_and_b32_e32 v2, 0x7fffff, v28
	v_or_b32_e32 v7, 0x7e, v19
	v_cmp_ne_u64_e32 vcc, s[0:1], v[30:31]
	s_and_saveexec_b64 s[0:1], vcc
	s_xor_b64 s[8:9], exec, s[0:1]
	s_cbranch_execz .LBB9_215
; %bb.202:
	v_and_b32_e32 v30, 0x7fffffff, v28
	v_mov_b32_e32 v31, v3
	s_mov_b64 s[0:1], 0x43e00001
	v_cmp_gt_u64_e32 vcc, s[0:1], v[30:31]
	s_and_saveexec_b64 s[0:1], vcc
	s_xor_b64 s[14:15], exec, s[0:1]
	s_cbranch_execz .LBB9_214
; %bb.203:
	v_cmp_ne_u32_e32 vcc, 0, v28
	v_mov_b32_e32 v7, 0
	s_and_saveexec_b64 s[16:17], vcc
	s_cbranch_execz .LBB9_213
; %bb.204:
	v_bfe_u32 v7, v28, 23, 8
	s_movk_i32 s0, 0x7a
	v_sub_u32_e32 v29, 0x79, v7
	v_cmp_gt_u32_e32 vcc, s0, v7
	v_add_u32_e32 v28, 0xffffff81, v7
	v_cndmask_b32_e32 v29, 0, v29, vcc
	v_mov_b32_e32 v31, 0xffffff82
	v_cmp_eq_u32_e32 vcc, 0, v7
	v_cndmask_b32_e32 v7, v28, v31, vcc
	v_mov_b32_e32 v28, 0x78
	v_cndmask_b32_e32 v34, v29, v28, vcc
	v_add_u32_e32 v28, 20, v34
	v_or_b32_e32 v30, 0x800000, v2
	v_lshlrev_b64 v[28:29], v28, -1
	v_cndmask_b32_e32 v2, v30, v2, vcc
	v_not_b32_e32 v28, v28
	v_and_b32_e32 v30, v2, v28
	v_add_u32_e32 v28, 19, v34
	v_lshrrev_b64 v[2:3], v34, v[2:3]
	v_not_b32_e32 v29, v29
	v_lshlrev_b64 v[32:33], v28, 1
	v_lshrrev_b32_e32 v28, 23, v2
	v_and_b32_e32 v31, 0, v29
	v_add3_u32 v29, v34, v7, v28
	v_bfe_u32 v28, v2, 20, 1
	v_add_u32_e32 v28, -1, v28
	v_cmp_eq_u64_e32 vcc, v[30:31], v[32:33]
	v_cndmask_b32_e32 v28, 0, v28, vcc
	v_add_u32_e32 v28, v28, v2
	v_and_b32_e32 v28, 0xfffff, v28
	v_add_co_u32_e32 v2, vcc, v28, v2
	v_add_u32_e32 v7, 6, v29
	v_addc_co_u32_e32 v3, vcc, 0, v3, vcc
	v_cmp_ne_u32_e32 vcc, 0, v7
                                        ; implicit-def: $vgpr28
	s_and_saveexec_b64 s[0:1], vcc
	s_xor_b64 s[0:1], exec, s[0:1]
; %bb.205:
	s_mov_b64 s[18:19], 0xffffff
	v_add_u32_e32 v28, 7, v29
	v_cmp_lt_u64_e32 vcc, s[18:19], v[2:3]
	v_cndmask_b32_e32 v28, v7, v28, vcc
	v_cndmask_b32_e64 v7, 0, 1, vcc
	v_lshrrev_b64 v[2:3], v7, v[2:3]
; %bb.206:
	s_andn2_saveexec_b64 s[0:1], s[0:1]
; %bb.207:
	v_bfe_u32 v28, v2, 23, 1
; %bb.208:
	s_or_b64 exec, exec, s[0:1]
	v_lshrrev_b64 v[2:3], 20, v[2:3]
	v_cmp_gt_i32_e32 vcc, 16, v28
	v_cndmask_b32_e32 v3, 0, v3, vcc
	v_cndmask_b32_e32 v2, 7, v2, vcc
	v_cmp_ne_u32_e32 vcc, 0, v28
	v_cmp_ne_u64_e64 s[0:1], 0, v[2:3]
	s_or_b64 s[0:1], vcc, s[0:1]
                                        ; implicit-def: $vgpr7
	s_and_saveexec_b64 s[18:19], s[0:1]
	s_xor_b64 s[0:1], exec, s[18:19]
; %bb.209:
	v_min_i32_e32 v3, 15, v28
	v_lshl_or_b32 v3, v3, 3, v19
	v_and_or_b32 v7, v2, 7, v3
                                        ; implicit-def: $vgpr19
; %bb.210:
	s_andn2_saveexec_b64 s[0:1], s[0:1]
; %bb.211:
	v_mov_b32_e32 v7, v19
; %bb.212:
	s_or_b64 exec, exec, s[0:1]
.LBB9_213:
	s_or_b64 exec, exec, s[16:17]
.LBB9_214:
	s_andn2_saveexec_b64 s[0:1], s[14:15]
	s_or_b64 exec, exec, s[0:1]
                                        ; implicit-def: $vgpr28
                                        ; implicit-def: $vgpr2_vgpr3
.LBB9_215:
	s_andn2_saveexec_b64 s[0:1], s[8:9]
; %bb.216:
	s_movk_i32 s8, 0x7f
	v_or_b32_sdwa v19, v28, s8 dst_sel:DWORD dst_unused:UNUSED_PAD src0_sel:BYTE_3 src1_sel:DWORD
	v_cmp_eq_u64_e32 vcc, 0, v[2:3]
	v_cndmask_b32_e32 v7, v19, v7, vcc
; %bb.217:
	s_or_b64 exec, exec, s[0:1]
	v_mul_f32_e32 v2, v23, v8
	v_max_f32_e32 v2, 0xc3e00000, v2
	v_min_f32_e32 v28, 0x43e00000, v2
	v_mov_b32_e32 v3, 0
	s_movk_i32 s0, 0x80
	v_and_b32_sdwa v19, v28, s0 dst_sel:DWORD dst_unused:UNUSED_PAD src0_sel:BYTE_3 src1_sel:DWORD
	v_and_b32_e32 v30, 0x7f800000, v28
	v_mov_b32_e32 v31, v3
	s_mov_b64 s[0:1], 0x7f800000
	v_and_b32_e32 v2, 0x7fffff, v28
	v_or_b32_e32 v8, 0x7e, v19
	v_cmp_ne_u64_e32 vcc, s[0:1], v[30:31]
	s_and_saveexec_b64 s[0:1], vcc
	s_xor_b64 s[8:9], exec, s[0:1]
	s_cbranch_execz .LBB9_231
; %bb.218:
	v_and_b32_e32 v30, 0x7fffffff, v28
	v_mov_b32_e32 v31, v3
	s_mov_b64 s[0:1], 0x43e00001
	v_cmp_gt_u64_e32 vcc, s[0:1], v[30:31]
	s_and_saveexec_b64 s[0:1], vcc
	s_xor_b64 s[14:15], exec, s[0:1]
	s_cbranch_execz .LBB9_230
; %bb.219:
	v_cmp_ne_u32_e32 vcc, 0, v28
	v_mov_b32_e32 v8, 0
	s_and_saveexec_b64 s[16:17], vcc
	s_cbranch_execz .LBB9_229
; %bb.220:
	v_bfe_u32 v8, v28, 23, 8
	s_movk_i32 s0, 0x7a
	v_sub_u32_e32 v29, 0x79, v8
	v_cmp_gt_u32_e32 vcc, s0, v8
	v_add_u32_e32 v28, 0xffffff81, v8
	v_cndmask_b32_e32 v29, 0, v29, vcc
	v_mov_b32_e32 v31, 0xffffff82
	v_cmp_eq_u32_e32 vcc, 0, v8
	v_cndmask_b32_e32 v8, v28, v31, vcc
	v_mov_b32_e32 v28, 0x78
	v_cndmask_b32_e32 v34, v29, v28, vcc
	v_add_u32_e32 v28, 20, v34
	v_or_b32_e32 v30, 0x800000, v2
	v_lshlrev_b64 v[28:29], v28, -1
	v_cndmask_b32_e32 v2, v30, v2, vcc
	v_not_b32_e32 v28, v28
	v_and_b32_e32 v30, v2, v28
	v_add_u32_e32 v28, 19, v34
	v_lshrrev_b64 v[2:3], v34, v[2:3]
	v_not_b32_e32 v29, v29
	v_lshlrev_b64 v[32:33], v28, 1
	v_lshrrev_b32_e32 v28, 23, v2
	v_and_b32_e32 v31, 0, v29
	v_add3_u32 v29, v34, v8, v28
	v_bfe_u32 v28, v2, 20, 1
	v_add_u32_e32 v28, -1, v28
	v_cmp_eq_u64_e32 vcc, v[30:31], v[32:33]
	v_cndmask_b32_e32 v28, 0, v28, vcc
	v_add_u32_e32 v28, v28, v2
	v_and_b32_e32 v28, 0xfffff, v28
	v_add_co_u32_e32 v2, vcc, v28, v2
	v_add_u32_e32 v8, 6, v29
	v_addc_co_u32_e32 v3, vcc, 0, v3, vcc
	v_cmp_ne_u32_e32 vcc, 0, v8
                                        ; implicit-def: $vgpr28
	s_and_saveexec_b64 s[0:1], vcc
	s_xor_b64 s[0:1], exec, s[0:1]
; %bb.221:
	s_mov_b64 s[18:19], 0xffffff
	v_add_u32_e32 v28, 7, v29
	v_cmp_lt_u64_e32 vcc, s[18:19], v[2:3]
	v_cndmask_b32_e32 v28, v8, v28, vcc
	v_cndmask_b32_e64 v8, 0, 1, vcc
	v_lshrrev_b64 v[2:3], v8, v[2:3]
; %bb.222:
	s_andn2_saveexec_b64 s[0:1], s[0:1]
; %bb.223:
	v_bfe_u32 v28, v2, 23, 1
; %bb.224:
	s_or_b64 exec, exec, s[0:1]
	v_lshrrev_b64 v[2:3], 20, v[2:3]
	v_cmp_gt_i32_e32 vcc, 16, v28
	v_cndmask_b32_e32 v3, 0, v3, vcc
	v_cndmask_b32_e32 v2, 7, v2, vcc
	v_cmp_ne_u32_e32 vcc, 0, v28
	v_cmp_ne_u64_e64 s[0:1], 0, v[2:3]
	s_or_b64 s[0:1], vcc, s[0:1]
                                        ; implicit-def: $vgpr8
	s_and_saveexec_b64 s[18:19], s[0:1]
	s_xor_b64 s[0:1], exec, s[18:19]
; %bb.225:
	v_min_i32_e32 v3, 15, v28
	v_lshl_or_b32 v3, v3, 3, v19
	v_and_or_b32 v8, v2, 7, v3
                                        ; implicit-def: $vgpr19
; %bb.226:
	s_andn2_saveexec_b64 s[0:1], s[0:1]
; %bb.227:
	v_mov_b32_e32 v8, v19
; %bb.228:
	s_or_b64 exec, exec, s[0:1]
.LBB9_229:
	s_or_b64 exec, exec, s[16:17]
.LBB9_230:
	s_andn2_saveexec_b64 s[0:1], s[14:15]
	s_or_b64 exec, exec, s[0:1]
                                        ; implicit-def: $vgpr28
                                        ; implicit-def: $vgpr2_vgpr3
.LBB9_231:
	s_andn2_saveexec_b64 s[0:1], s[8:9]
; %bb.232:
	s_movk_i32 s8, 0x7f
	v_or_b32_sdwa v19, v28, s8 dst_sel:DWORD dst_unused:UNUSED_PAD src0_sel:BYTE_3 src1_sel:DWORD
	v_cmp_eq_u64_e32 vcc, 0, v[2:3]
	v_cndmask_b32_e32 v8, v19, v8, vcc
; %bb.233:
	s_or_b64 exec, exec, s[0:1]
	v_mul_f32_e32 v2, v23, v9
	v_max_f32_e32 v2, 0xc3e00000, v2
	v_min_f32_e32 v28, 0x43e00000, v2
	v_mov_b32_e32 v3, 0
	s_movk_i32 s0, 0x80
	v_and_b32_sdwa v19, v28, s0 dst_sel:DWORD dst_unused:UNUSED_PAD src0_sel:BYTE_3 src1_sel:DWORD
	v_and_b32_e32 v30, 0x7f800000, v28
	v_mov_b32_e32 v31, v3
	s_mov_b64 s[0:1], 0x7f800000
	v_and_b32_e32 v2, 0x7fffff, v28
	v_or_b32_e32 v9, 0x7e, v19
	v_cmp_ne_u64_e32 vcc, s[0:1], v[30:31]
	s_and_saveexec_b64 s[0:1], vcc
	s_xor_b64 s[8:9], exec, s[0:1]
	s_cbranch_execz .LBB9_247
; %bb.234:
	v_and_b32_e32 v30, 0x7fffffff, v28
	v_mov_b32_e32 v31, v3
	s_mov_b64 s[0:1], 0x43e00001
	v_cmp_gt_u64_e32 vcc, s[0:1], v[30:31]
	s_and_saveexec_b64 s[0:1], vcc
	s_xor_b64 s[14:15], exec, s[0:1]
	s_cbranch_execz .LBB9_246
; %bb.235:
	v_cmp_ne_u32_e32 vcc, 0, v28
	v_mov_b32_e32 v9, 0
	s_and_saveexec_b64 s[16:17], vcc
	s_cbranch_execz .LBB9_245
; %bb.236:
	v_bfe_u32 v9, v28, 23, 8
	s_movk_i32 s0, 0x7a
	v_sub_u32_e32 v29, 0x79, v9
	v_cmp_gt_u32_e32 vcc, s0, v9
	v_add_u32_e32 v28, 0xffffff81, v9
	v_cndmask_b32_e32 v29, 0, v29, vcc
	v_mov_b32_e32 v31, 0xffffff82
	v_cmp_eq_u32_e32 vcc, 0, v9
	v_cndmask_b32_e32 v9, v28, v31, vcc
	v_mov_b32_e32 v28, 0x78
	v_cndmask_b32_e32 v34, v29, v28, vcc
	v_add_u32_e32 v28, 20, v34
	v_or_b32_e32 v30, 0x800000, v2
	v_lshlrev_b64 v[28:29], v28, -1
	v_cndmask_b32_e32 v2, v30, v2, vcc
	v_not_b32_e32 v28, v28
	v_and_b32_e32 v30, v2, v28
	v_add_u32_e32 v28, 19, v34
	v_lshrrev_b64 v[2:3], v34, v[2:3]
	v_not_b32_e32 v29, v29
	v_lshlrev_b64 v[32:33], v28, 1
	v_lshrrev_b32_e32 v28, 23, v2
	v_and_b32_e32 v31, 0, v29
	v_add3_u32 v29, v34, v9, v28
	v_bfe_u32 v28, v2, 20, 1
	v_add_u32_e32 v28, -1, v28
	v_cmp_eq_u64_e32 vcc, v[30:31], v[32:33]
	v_cndmask_b32_e32 v28, 0, v28, vcc
	v_add_u32_e32 v28, v28, v2
	v_and_b32_e32 v28, 0xfffff, v28
	v_add_co_u32_e32 v2, vcc, v28, v2
	v_add_u32_e32 v9, 6, v29
	v_addc_co_u32_e32 v3, vcc, 0, v3, vcc
	v_cmp_ne_u32_e32 vcc, 0, v9
                                        ; implicit-def: $vgpr28
	s_and_saveexec_b64 s[0:1], vcc
	s_xor_b64 s[0:1], exec, s[0:1]
; %bb.237:
	s_mov_b64 s[18:19], 0xffffff
	v_add_u32_e32 v28, 7, v29
	v_cmp_lt_u64_e32 vcc, s[18:19], v[2:3]
	v_cndmask_b32_e32 v28, v9, v28, vcc
	v_cndmask_b32_e64 v9, 0, 1, vcc
	v_lshrrev_b64 v[2:3], v9, v[2:3]
; %bb.238:
	s_andn2_saveexec_b64 s[0:1], s[0:1]
; %bb.239:
	v_bfe_u32 v28, v2, 23, 1
; %bb.240:
	s_or_b64 exec, exec, s[0:1]
	v_lshrrev_b64 v[2:3], 20, v[2:3]
	v_cmp_gt_i32_e32 vcc, 16, v28
	v_cndmask_b32_e32 v3, 0, v3, vcc
	v_cndmask_b32_e32 v2, 7, v2, vcc
	v_cmp_ne_u32_e32 vcc, 0, v28
	v_cmp_ne_u64_e64 s[0:1], 0, v[2:3]
	s_or_b64 s[0:1], vcc, s[0:1]
                                        ; implicit-def: $vgpr9
	s_and_saveexec_b64 s[18:19], s[0:1]
	s_xor_b64 s[0:1], exec, s[18:19]
; %bb.241:
	v_min_i32_e32 v3, 15, v28
	v_lshl_or_b32 v3, v3, 3, v19
	v_and_or_b32 v9, v2, 7, v3
                                        ; implicit-def: $vgpr19
; %bb.242:
	s_andn2_saveexec_b64 s[0:1], s[0:1]
; %bb.243:
	v_mov_b32_e32 v9, v19
; %bb.244:
	s_or_b64 exec, exec, s[0:1]
.LBB9_245:
	s_or_b64 exec, exec, s[16:17]
.LBB9_246:
	s_andn2_saveexec_b64 s[0:1], s[14:15]
	s_or_b64 exec, exec, s[0:1]
                                        ; implicit-def: $vgpr28
                                        ; implicit-def: $vgpr2_vgpr3
.LBB9_247:
	s_andn2_saveexec_b64 s[0:1], s[8:9]
; %bb.248:
	s_movk_i32 s8, 0x7f
	v_or_b32_sdwa v19, v28, s8 dst_sel:DWORD dst_unused:UNUSED_PAD src0_sel:BYTE_3 src1_sel:DWORD
	v_cmp_eq_u64_e32 vcc, 0, v[2:3]
	v_cndmask_b32_e32 v9, v19, v9, vcc
; %bb.249:
	s_or_b64 exec, exec, s[0:1]
	v_mul_f32_e32 v2, v23, v10
	v_max_f32_e32 v2, 0xc3e00000, v2
	v_min_f32_e32 v28, 0x43e00000, v2
	v_mov_b32_e32 v3, 0
	s_movk_i32 s0, 0x80
	v_and_b32_sdwa v19, v28, s0 dst_sel:DWORD dst_unused:UNUSED_PAD src0_sel:BYTE_3 src1_sel:DWORD
	v_and_b32_e32 v30, 0x7f800000, v28
	v_mov_b32_e32 v31, v3
	s_mov_b64 s[0:1], 0x7f800000
	v_and_b32_e32 v2, 0x7fffff, v28
	v_or_b32_e32 v10, 0x7e, v19
	v_cmp_ne_u64_e32 vcc, s[0:1], v[30:31]
	s_and_saveexec_b64 s[0:1], vcc
	s_xor_b64 s[8:9], exec, s[0:1]
	s_cbranch_execz .LBB9_263
; %bb.250:
	v_and_b32_e32 v30, 0x7fffffff, v28
	v_mov_b32_e32 v31, v3
	s_mov_b64 s[0:1], 0x43e00001
	v_cmp_gt_u64_e32 vcc, s[0:1], v[30:31]
	s_and_saveexec_b64 s[0:1], vcc
	s_xor_b64 s[14:15], exec, s[0:1]
	s_cbranch_execz .LBB9_262
; %bb.251:
	v_cmp_ne_u32_e32 vcc, 0, v28
	v_mov_b32_e32 v10, 0
	s_and_saveexec_b64 s[16:17], vcc
	s_cbranch_execz .LBB9_261
; %bb.252:
	v_bfe_u32 v10, v28, 23, 8
	s_movk_i32 s0, 0x7a
	v_sub_u32_e32 v29, 0x79, v10
	v_cmp_gt_u32_e32 vcc, s0, v10
	v_add_u32_e32 v28, 0xffffff81, v10
	v_cndmask_b32_e32 v29, 0, v29, vcc
	v_mov_b32_e32 v31, 0xffffff82
	v_cmp_eq_u32_e32 vcc, 0, v10
	v_cndmask_b32_e32 v10, v28, v31, vcc
	v_mov_b32_e32 v28, 0x78
	v_cndmask_b32_e32 v34, v29, v28, vcc
	v_add_u32_e32 v28, 20, v34
	v_or_b32_e32 v30, 0x800000, v2
	v_lshlrev_b64 v[28:29], v28, -1
	v_cndmask_b32_e32 v2, v30, v2, vcc
	v_not_b32_e32 v28, v28
	v_and_b32_e32 v30, v2, v28
	v_add_u32_e32 v28, 19, v34
	v_lshrrev_b64 v[2:3], v34, v[2:3]
	v_not_b32_e32 v29, v29
	v_lshlrev_b64 v[32:33], v28, 1
	v_lshrrev_b32_e32 v28, 23, v2
	v_and_b32_e32 v31, 0, v29
	v_add3_u32 v29, v34, v10, v28
	v_bfe_u32 v28, v2, 20, 1
	v_add_u32_e32 v28, -1, v28
	v_cmp_eq_u64_e32 vcc, v[30:31], v[32:33]
	v_cndmask_b32_e32 v28, 0, v28, vcc
	v_add_u32_e32 v28, v28, v2
	v_and_b32_e32 v28, 0xfffff, v28
	v_add_co_u32_e32 v2, vcc, v28, v2
	v_add_u32_e32 v10, 6, v29
	v_addc_co_u32_e32 v3, vcc, 0, v3, vcc
	v_cmp_ne_u32_e32 vcc, 0, v10
                                        ; implicit-def: $vgpr28
	s_and_saveexec_b64 s[0:1], vcc
	s_xor_b64 s[0:1], exec, s[0:1]
; %bb.253:
	s_mov_b64 s[18:19], 0xffffff
	v_add_u32_e32 v28, 7, v29
	v_cmp_lt_u64_e32 vcc, s[18:19], v[2:3]
	v_cndmask_b32_e32 v28, v10, v28, vcc
	v_cndmask_b32_e64 v10, 0, 1, vcc
	v_lshrrev_b64 v[2:3], v10, v[2:3]
; %bb.254:
	s_andn2_saveexec_b64 s[0:1], s[0:1]
; %bb.255:
	v_bfe_u32 v28, v2, 23, 1
; %bb.256:
	s_or_b64 exec, exec, s[0:1]
	v_lshrrev_b64 v[2:3], 20, v[2:3]
	v_cmp_gt_i32_e32 vcc, 16, v28
	v_cndmask_b32_e32 v3, 0, v3, vcc
	v_cndmask_b32_e32 v2, 7, v2, vcc
	v_cmp_ne_u32_e32 vcc, 0, v28
	v_cmp_ne_u64_e64 s[0:1], 0, v[2:3]
	s_or_b64 s[0:1], vcc, s[0:1]
                                        ; implicit-def: $vgpr10
	s_and_saveexec_b64 s[18:19], s[0:1]
	s_xor_b64 s[0:1], exec, s[18:19]
; %bb.257:
	v_min_i32_e32 v3, 15, v28
	v_lshl_or_b32 v3, v3, 3, v19
	v_and_or_b32 v10, v2, 7, v3
                                        ; implicit-def: $vgpr19
; %bb.258:
	s_andn2_saveexec_b64 s[0:1], s[0:1]
; %bb.259:
	v_mov_b32_e32 v10, v19
; %bb.260:
	s_or_b64 exec, exec, s[0:1]
.LBB9_261:
	s_or_b64 exec, exec, s[16:17]
.LBB9_262:
	s_andn2_saveexec_b64 s[0:1], s[14:15]
	s_or_b64 exec, exec, s[0:1]
                                        ; implicit-def: $vgpr28
                                        ; implicit-def: $vgpr2_vgpr3
.LBB9_263:
	s_andn2_saveexec_b64 s[0:1], s[8:9]
; %bb.264:
	s_movk_i32 s8, 0x7f
	v_or_b32_sdwa v19, v28, s8 dst_sel:DWORD dst_unused:UNUSED_PAD src0_sel:BYTE_3 src1_sel:DWORD
	v_cmp_eq_u64_e32 vcc, 0, v[2:3]
	v_cndmask_b32_e32 v10, v19, v10, vcc
; %bb.265:
	s_or_b64 exec, exec, s[0:1]
	v_mul_f32_e32 v2, v23, v11
	v_max_f32_e32 v2, 0xc3e00000, v2
	v_min_f32_e32 v28, 0x43e00000, v2
	v_mov_b32_e32 v3, 0
	s_movk_i32 s0, 0x80
	v_and_b32_sdwa v19, v28, s0 dst_sel:DWORD dst_unused:UNUSED_PAD src0_sel:BYTE_3 src1_sel:DWORD
	v_and_b32_e32 v30, 0x7f800000, v28
	v_mov_b32_e32 v31, v3
	s_mov_b64 s[0:1], 0x7f800000
	v_and_b32_e32 v2, 0x7fffff, v28
	v_or_b32_e32 v11, 0x7e, v19
	v_cmp_ne_u64_e32 vcc, s[0:1], v[30:31]
	s_and_saveexec_b64 s[0:1], vcc
	s_xor_b64 s[8:9], exec, s[0:1]
	s_cbranch_execz .LBB9_279
; %bb.266:
	v_and_b32_e32 v30, 0x7fffffff, v28
	v_mov_b32_e32 v31, v3
	s_mov_b64 s[0:1], 0x43e00001
	v_cmp_gt_u64_e32 vcc, s[0:1], v[30:31]
	s_and_saveexec_b64 s[0:1], vcc
	s_xor_b64 s[14:15], exec, s[0:1]
	s_cbranch_execz .LBB9_278
; %bb.267:
	v_cmp_ne_u32_e32 vcc, 0, v28
	v_mov_b32_e32 v11, 0
	s_and_saveexec_b64 s[16:17], vcc
	s_cbranch_execz .LBB9_277
; %bb.268:
	v_bfe_u32 v11, v28, 23, 8
	s_movk_i32 s0, 0x7a
	v_sub_u32_e32 v29, 0x79, v11
	v_cmp_gt_u32_e32 vcc, s0, v11
	v_add_u32_e32 v28, 0xffffff81, v11
	v_cndmask_b32_e32 v29, 0, v29, vcc
	v_mov_b32_e32 v31, 0xffffff82
	v_cmp_eq_u32_e32 vcc, 0, v11
	v_cndmask_b32_e32 v11, v28, v31, vcc
	v_mov_b32_e32 v28, 0x78
	v_cndmask_b32_e32 v34, v29, v28, vcc
	v_add_u32_e32 v28, 20, v34
	v_or_b32_e32 v30, 0x800000, v2
	v_lshlrev_b64 v[28:29], v28, -1
	v_cndmask_b32_e32 v2, v30, v2, vcc
	v_not_b32_e32 v28, v28
	v_and_b32_e32 v30, v2, v28
	v_add_u32_e32 v28, 19, v34
	v_lshrrev_b64 v[2:3], v34, v[2:3]
	v_not_b32_e32 v29, v29
	v_lshlrev_b64 v[32:33], v28, 1
	v_lshrrev_b32_e32 v28, 23, v2
	v_and_b32_e32 v31, 0, v29
	v_add3_u32 v29, v34, v11, v28
	v_bfe_u32 v28, v2, 20, 1
	v_add_u32_e32 v28, -1, v28
	v_cmp_eq_u64_e32 vcc, v[30:31], v[32:33]
	v_cndmask_b32_e32 v28, 0, v28, vcc
	v_add_u32_e32 v28, v28, v2
	v_and_b32_e32 v28, 0xfffff, v28
	v_add_co_u32_e32 v2, vcc, v28, v2
	v_add_u32_e32 v11, 6, v29
	v_addc_co_u32_e32 v3, vcc, 0, v3, vcc
	v_cmp_ne_u32_e32 vcc, 0, v11
                                        ; implicit-def: $vgpr28
	s_and_saveexec_b64 s[0:1], vcc
	s_xor_b64 s[0:1], exec, s[0:1]
; %bb.269:
	s_mov_b64 s[18:19], 0xffffff
	v_add_u32_e32 v28, 7, v29
	v_cmp_lt_u64_e32 vcc, s[18:19], v[2:3]
	v_cndmask_b32_e32 v28, v11, v28, vcc
	v_cndmask_b32_e64 v11, 0, 1, vcc
	v_lshrrev_b64 v[2:3], v11, v[2:3]
; %bb.270:
	s_andn2_saveexec_b64 s[0:1], s[0:1]
; %bb.271:
	v_bfe_u32 v28, v2, 23, 1
; %bb.272:
	s_or_b64 exec, exec, s[0:1]
	v_lshrrev_b64 v[2:3], 20, v[2:3]
	v_cmp_gt_i32_e32 vcc, 16, v28
	v_cndmask_b32_e32 v3, 0, v3, vcc
	v_cndmask_b32_e32 v2, 7, v2, vcc
	v_cmp_ne_u32_e32 vcc, 0, v28
	v_cmp_ne_u64_e64 s[0:1], 0, v[2:3]
	s_or_b64 s[0:1], vcc, s[0:1]
                                        ; implicit-def: $vgpr11
	s_and_saveexec_b64 s[18:19], s[0:1]
	s_xor_b64 s[0:1], exec, s[18:19]
; %bb.273:
	v_min_i32_e32 v3, 15, v28
	v_lshl_or_b32 v3, v3, 3, v19
	v_and_or_b32 v11, v2, 7, v3
                                        ; implicit-def: $vgpr19
; %bb.274:
	s_andn2_saveexec_b64 s[0:1], s[0:1]
; %bb.275:
	v_mov_b32_e32 v11, v19
; %bb.276:
	s_or_b64 exec, exec, s[0:1]
.LBB9_277:
	s_or_b64 exec, exec, s[16:17]
.LBB9_278:
	s_andn2_saveexec_b64 s[0:1], s[14:15]
	s_or_b64 exec, exec, s[0:1]
                                        ; implicit-def: $vgpr28
                                        ; implicit-def: $vgpr2_vgpr3
.LBB9_279:
	s_andn2_saveexec_b64 s[0:1], s[8:9]
; %bb.280:
	s_movk_i32 s8, 0x7f
	v_or_b32_sdwa v19, v28, s8 dst_sel:DWORD dst_unused:UNUSED_PAD src0_sel:BYTE_3 src1_sel:DWORD
	v_cmp_eq_u64_e32 vcc, 0, v[2:3]
	v_cndmask_b32_e32 v11, v19, v11, vcc
; %bb.281:
	s_or_b64 exec, exec, s[0:1]
	v_mul_f32_e32 v2, v23, v27
	v_max_f32_e32 v2, 0xc3e00000, v2
	v_min_f32_e32 v28, 0x43e00000, v2
	v_mov_b32_e32 v3, 0
	s_movk_i32 s0, 0x80
	v_and_b32_sdwa v27, v28, s0 dst_sel:DWORD dst_unused:UNUSED_PAD src0_sel:BYTE_3 src1_sel:DWORD
	v_and_b32_e32 v30, 0x7f800000, v28
	v_mov_b32_e32 v31, v3
	s_mov_b64 s[0:1], 0x7f800000
	v_and_b32_e32 v2, 0x7fffff, v28
	v_or_b32_e32 v19, 0x7e, v27
	v_cmp_ne_u64_e32 vcc, s[0:1], v[30:31]
	s_and_saveexec_b64 s[0:1], vcc
	s_xor_b64 s[8:9], exec, s[0:1]
	s_cbranch_execz .LBB9_295
; %bb.282:
	v_and_b32_e32 v30, 0x7fffffff, v28
	v_mov_b32_e32 v31, v3
	s_mov_b64 s[0:1], 0x43e00001
	v_cmp_gt_u64_e32 vcc, s[0:1], v[30:31]
	s_and_saveexec_b64 s[0:1], vcc
	s_xor_b64 s[14:15], exec, s[0:1]
	s_cbranch_execz .LBB9_294
; %bb.283:
	v_cmp_ne_u32_e32 vcc, 0, v28
	v_mov_b32_e32 v19, 0
	s_and_saveexec_b64 s[16:17], vcc
	s_cbranch_execz .LBB9_293
; %bb.284:
	v_bfe_u32 v19, v28, 23, 8
	s_movk_i32 s0, 0x7a
	v_sub_u32_e32 v29, 0x79, v19
	v_cmp_gt_u32_e32 vcc, s0, v19
	v_add_u32_e32 v28, 0xffffff81, v19
	v_cndmask_b32_e32 v29, 0, v29, vcc
	v_mov_b32_e32 v31, 0xffffff82
	v_cmp_eq_u32_e32 vcc, 0, v19
	v_cndmask_b32_e32 v19, v28, v31, vcc
	v_mov_b32_e32 v28, 0x78
	v_cndmask_b32_e32 v34, v29, v28, vcc
	v_add_u32_e32 v28, 20, v34
	v_or_b32_e32 v30, 0x800000, v2
	v_lshlrev_b64 v[28:29], v28, -1
	v_cndmask_b32_e32 v2, v30, v2, vcc
	v_not_b32_e32 v28, v28
	v_and_b32_e32 v30, v2, v28
	v_add_u32_e32 v28, 19, v34
	v_lshrrev_b64 v[2:3], v34, v[2:3]
	v_not_b32_e32 v29, v29
	v_lshlrev_b64 v[32:33], v28, 1
	v_lshrrev_b32_e32 v28, 23, v2
	v_and_b32_e32 v31, 0, v29
	v_add3_u32 v29, v34, v19, v28
	v_bfe_u32 v28, v2, 20, 1
	v_add_u32_e32 v28, -1, v28
	v_cmp_eq_u64_e32 vcc, v[30:31], v[32:33]
	v_cndmask_b32_e32 v28, 0, v28, vcc
	v_add_u32_e32 v28, v28, v2
	v_and_b32_e32 v28, 0xfffff, v28
	v_add_co_u32_e32 v2, vcc, v28, v2
	v_add_u32_e32 v19, 6, v29
	v_addc_co_u32_e32 v3, vcc, 0, v3, vcc
	v_cmp_ne_u32_e32 vcc, 0, v19
                                        ; implicit-def: $vgpr28
	s_and_saveexec_b64 s[0:1], vcc
	s_xor_b64 s[0:1], exec, s[0:1]
; %bb.285:
	s_mov_b64 s[18:19], 0xffffff
	v_add_u32_e32 v28, 7, v29
	v_cmp_lt_u64_e32 vcc, s[18:19], v[2:3]
	v_cndmask_b32_e32 v28, v19, v28, vcc
	v_cndmask_b32_e64 v19, 0, 1, vcc
	v_lshrrev_b64 v[2:3], v19, v[2:3]
; %bb.286:
	s_andn2_saveexec_b64 s[0:1], s[0:1]
; %bb.287:
	v_bfe_u32 v28, v2, 23, 1
; %bb.288:
	s_or_b64 exec, exec, s[0:1]
	v_lshrrev_b64 v[2:3], 20, v[2:3]
	v_cmp_gt_i32_e32 vcc, 16, v28
	v_cndmask_b32_e32 v3, 0, v3, vcc
	v_cndmask_b32_e32 v2, 7, v2, vcc
	v_cmp_ne_u32_e32 vcc, 0, v28
	v_cmp_ne_u64_e64 s[0:1], 0, v[2:3]
	s_or_b64 s[0:1], vcc, s[0:1]
                                        ; implicit-def: $vgpr19
	s_and_saveexec_b64 s[18:19], s[0:1]
	s_xor_b64 s[0:1], exec, s[18:19]
; %bb.289:
	v_min_i32_e32 v3, 15, v28
	v_lshl_or_b32 v3, v3, 3, v27
	v_and_or_b32 v19, v2, 7, v3
                                        ; implicit-def: $vgpr27
; %bb.290:
	s_andn2_saveexec_b64 s[0:1], s[0:1]
; %bb.291:
	v_mov_b32_e32 v19, v27
; %bb.292:
	s_or_b64 exec, exec, s[0:1]
.LBB9_293:
	s_or_b64 exec, exec, s[16:17]
.LBB9_294:
	s_andn2_saveexec_b64 s[0:1], s[14:15]
	s_or_b64 exec, exec, s[0:1]
                                        ; implicit-def: $vgpr28
                                        ; implicit-def: $vgpr2_vgpr3
.LBB9_295:
	s_andn2_saveexec_b64 s[0:1], s[8:9]
; %bb.296:
	s_movk_i32 s8, 0x7f
	v_or_b32_sdwa v27, v28, s8 dst_sel:DWORD dst_unused:UNUSED_PAD src0_sel:BYTE_3 src1_sel:DWORD
	v_cmp_eq_u64_e32 vcc, 0, v[2:3]
	v_cndmask_b32_e32 v19, v27, v19, vcc
; %bb.297:
	s_or_b64 exec, exec, s[0:1]
	v_mul_f32_e32 v2, v23, v26
	v_max_f32_e32 v2, 0xc3e00000, v2
	v_min_f32_e32 v28, 0x43e00000, v2
	v_mov_b32_e32 v3, 0
	s_movk_i32 s0, 0x80
	v_and_b32_sdwa v27, v28, s0 dst_sel:DWORD dst_unused:UNUSED_PAD src0_sel:BYTE_3 src1_sel:DWORD
	v_and_b32_e32 v30, 0x7f800000, v28
	v_mov_b32_e32 v31, v3
	s_mov_b64 s[0:1], 0x7f800000
	v_and_b32_e32 v2, 0x7fffff, v28
	v_or_b32_e32 v26, 0x7e, v27
	v_cmp_ne_u64_e32 vcc, s[0:1], v[30:31]
	s_and_saveexec_b64 s[0:1], vcc
	s_xor_b64 s[8:9], exec, s[0:1]
	s_cbranch_execz .LBB9_311
; %bb.298:
	v_and_b32_e32 v30, 0x7fffffff, v28
	v_mov_b32_e32 v31, v3
	s_mov_b64 s[0:1], 0x43e00001
	v_cmp_gt_u64_e32 vcc, s[0:1], v[30:31]
	s_and_saveexec_b64 s[0:1], vcc
	s_xor_b64 s[14:15], exec, s[0:1]
	s_cbranch_execz .LBB9_310
; %bb.299:
	v_cmp_ne_u32_e32 vcc, 0, v28
	v_mov_b32_e32 v26, 0
	s_and_saveexec_b64 s[16:17], vcc
	s_cbranch_execz .LBB9_309
; %bb.300:
	v_bfe_u32 v26, v28, 23, 8
	s_movk_i32 s0, 0x7a
	v_sub_u32_e32 v29, 0x79, v26
	v_cmp_gt_u32_e32 vcc, s0, v26
	v_add_u32_e32 v28, 0xffffff81, v26
	v_cndmask_b32_e32 v29, 0, v29, vcc
	v_mov_b32_e32 v31, 0xffffff82
	v_cmp_eq_u32_e32 vcc, 0, v26
	v_cndmask_b32_e32 v26, v28, v31, vcc
	v_mov_b32_e32 v28, 0x78
	v_cndmask_b32_e32 v34, v29, v28, vcc
	v_add_u32_e32 v28, 20, v34
	v_or_b32_e32 v30, 0x800000, v2
	v_lshlrev_b64 v[28:29], v28, -1
	v_cndmask_b32_e32 v2, v30, v2, vcc
	v_not_b32_e32 v28, v28
	v_and_b32_e32 v30, v2, v28
	v_add_u32_e32 v28, 19, v34
	v_lshrrev_b64 v[2:3], v34, v[2:3]
	v_not_b32_e32 v29, v29
	v_lshlrev_b64 v[32:33], v28, 1
	v_lshrrev_b32_e32 v28, 23, v2
	v_and_b32_e32 v31, 0, v29
	v_add3_u32 v29, v34, v26, v28
	v_bfe_u32 v28, v2, 20, 1
	v_add_u32_e32 v28, -1, v28
	v_cmp_eq_u64_e32 vcc, v[30:31], v[32:33]
	v_cndmask_b32_e32 v28, 0, v28, vcc
	v_add_u32_e32 v28, v28, v2
	v_and_b32_e32 v28, 0xfffff, v28
	v_add_co_u32_e32 v2, vcc, v28, v2
	v_add_u32_e32 v26, 6, v29
	v_addc_co_u32_e32 v3, vcc, 0, v3, vcc
	v_cmp_ne_u32_e32 vcc, 0, v26
                                        ; implicit-def: $vgpr28
	s_and_saveexec_b64 s[0:1], vcc
	s_xor_b64 s[0:1], exec, s[0:1]
; %bb.301:
	s_mov_b64 s[18:19], 0xffffff
	v_add_u32_e32 v28, 7, v29
	v_cmp_lt_u64_e32 vcc, s[18:19], v[2:3]
	v_cndmask_b32_e32 v28, v26, v28, vcc
	v_cndmask_b32_e64 v26, 0, 1, vcc
	v_lshrrev_b64 v[2:3], v26, v[2:3]
; %bb.302:
	s_andn2_saveexec_b64 s[0:1], s[0:1]
; %bb.303:
	v_bfe_u32 v28, v2, 23, 1
; %bb.304:
	s_or_b64 exec, exec, s[0:1]
	v_lshrrev_b64 v[2:3], 20, v[2:3]
	v_cmp_gt_i32_e32 vcc, 16, v28
	v_cndmask_b32_e32 v3, 0, v3, vcc
	v_cndmask_b32_e32 v2, 7, v2, vcc
	v_cmp_ne_u32_e32 vcc, 0, v28
	v_cmp_ne_u64_e64 s[0:1], 0, v[2:3]
	s_or_b64 s[0:1], vcc, s[0:1]
                                        ; implicit-def: $vgpr26
	s_and_saveexec_b64 s[18:19], s[0:1]
	s_xor_b64 s[0:1], exec, s[18:19]
; %bb.305:
	v_min_i32_e32 v3, 15, v28
	v_lshl_or_b32 v3, v3, 3, v27
	v_and_or_b32 v26, v2, 7, v3
                                        ; implicit-def: $vgpr27
; %bb.306:
	s_andn2_saveexec_b64 s[0:1], s[0:1]
; %bb.307:
	v_mov_b32_e32 v26, v27
; %bb.308:
	s_or_b64 exec, exec, s[0:1]
.LBB9_309:
	s_or_b64 exec, exec, s[16:17]
.LBB9_310:
	s_andn2_saveexec_b64 s[0:1], s[14:15]
	s_or_b64 exec, exec, s[0:1]
                                        ; implicit-def: $vgpr28
                                        ; implicit-def: $vgpr2_vgpr3
.LBB9_311:
	s_andn2_saveexec_b64 s[0:1], s[8:9]
; %bb.312:
	s_movk_i32 s8, 0x7f
	v_or_b32_sdwa v27, v28, s8 dst_sel:DWORD dst_unused:UNUSED_PAD src0_sel:BYTE_3 src1_sel:DWORD
	v_cmp_eq_u64_e32 vcc, 0, v[2:3]
	v_cndmask_b32_e32 v26, v27, v26, vcc
; %bb.313:
	s_or_b64 exec, exec, s[0:1]
	v_mul_f32_e32 v2, v23, v24
	v_max_f32_e32 v2, 0xc3e00000, v2
	v_min_f32_e32 v28, 0x43e00000, v2
	v_mov_b32_e32 v3, 0
	s_movk_i32 s0, 0x80
	v_and_b32_sdwa v27, v28, s0 dst_sel:DWORD dst_unused:UNUSED_PAD src0_sel:BYTE_3 src1_sel:DWORD
	v_and_b32_e32 v30, 0x7f800000, v28
	v_mov_b32_e32 v31, v3
	s_mov_b64 s[0:1], 0x7f800000
	v_and_b32_e32 v2, 0x7fffff, v28
	v_or_b32_e32 v24, 0x7e, v27
	v_cmp_ne_u64_e32 vcc, s[0:1], v[30:31]
	s_and_saveexec_b64 s[0:1], vcc
	s_xor_b64 s[8:9], exec, s[0:1]
	s_cbranch_execz .LBB9_327
; %bb.314:
	v_and_b32_e32 v30, 0x7fffffff, v28
	v_mov_b32_e32 v31, v3
	s_mov_b64 s[0:1], 0x43e00001
	v_cmp_gt_u64_e32 vcc, s[0:1], v[30:31]
	s_and_saveexec_b64 s[0:1], vcc
	s_xor_b64 s[14:15], exec, s[0:1]
	s_cbranch_execz .LBB9_326
; %bb.315:
	v_cmp_ne_u32_e32 vcc, 0, v28
	v_mov_b32_e32 v24, 0
	s_and_saveexec_b64 s[16:17], vcc
	s_cbranch_execz .LBB9_325
; %bb.316:
	v_bfe_u32 v24, v28, 23, 8
	s_movk_i32 s0, 0x7a
	v_sub_u32_e32 v29, 0x79, v24
	v_cmp_gt_u32_e32 vcc, s0, v24
	v_add_u32_e32 v28, 0xffffff81, v24
	v_cndmask_b32_e32 v29, 0, v29, vcc
	v_mov_b32_e32 v31, 0xffffff82
	v_cmp_eq_u32_e32 vcc, 0, v24
	v_cndmask_b32_e32 v24, v28, v31, vcc
	v_mov_b32_e32 v28, 0x78
	v_cndmask_b32_e32 v34, v29, v28, vcc
	v_add_u32_e32 v28, 20, v34
	v_or_b32_e32 v30, 0x800000, v2
	v_lshlrev_b64 v[28:29], v28, -1
	v_cndmask_b32_e32 v2, v30, v2, vcc
	v_not_b32_e32 v28, v28
	v_and_b32_e32 v30, v2, v28
	v_add_u32_e32 v28, 19, v34
	v_lshrrev_b64 v[2:3], v34, v[2:3]
	v_not_b32_e32 v29, v29
	v_lshlrev_b64 v[32:33], v28, 1
	v_lshrrev_b32_e32 v28, 23, v2
	v_and_b32_e32 v31, 0, v29
	v_add3_u32 v29, v34, v24, v28
	v_bfe_u32 v28, v2, 20, 1
	v_add_u32_e32 v28, -1, v28
	v_cmp_eq_u64_e32 vcc, v[30:31], v[32:33]
	v_cndmask_b32_e32 v28, 0, v28, vcc
	v_add_u32_e32 v28, v28, v2
	v_and_b32_e32 v28, 0xfffff, v28
	v_add_co_u32_e32 v2, vcc, v28, v2
	v_add_u32_e32 v24, 6, v29
	v_addc_co_u32_e32 v3, vcc, 0, v3, vcc
	v_cmp_ne_u32_e32 vcc, 0, v24
                                        ; implicit-def: $vgpr28
	s_and_saveexec_b64 s[0:1], vcc
	s_xor_b64 s[0:1], exec, s[0:1]
; %bb.317:
	s_mov_b64 s[18:19], 0xffffff
	v_add_u32_e32 v28, 7, v29
	v_cmp_lt_u64_e32 vcc, s[18:19], v[2:3]
	v_cndmask_b32_e32 v28, v24, v28, vcc
	v_cndmask_b32_e64 v24, 0, 1, vcc
	v_lshrrev_b64 v[2:3], v24, v[2:3]
; %bb.318:
	s_andn2_saveexec_b64 s[0:1], s[0:1]
; %bb.319:
	v_bfe_u32 v28, v2, 23, 1
; %bb.320:
	s_or_b64 exec, exec, s[0:1]
	v_lshrrev_b64 v[2:3], 20, v[2:3]
	v_cmp_gt_i32_e32 vcc, 16, v28
	v_cndmask_b32_e32 v3, 0, v3, vcc
	v_cndmask_b32_e32 v2, 7, v2, vcc
	v_cmp_ne_u32_e32 vcc, 0, v28
	v_cmp_ne_u64_e64 s[0:1], 0, v[2:3]
	s_or_b64 s[0:1], vcc, s[0:1]
                                        ; implicit-def: $vgpr24
	s_and_saveexec_b64 s[18:19], s[0:1]
	s_xor_b64 s[0:1], exec, s[18:19]
; %bb.321:
	v_min_i32_e32 v3, 15, v28
	v_lshl_or_b32 v3, v3, 3, v27
	v_and_or_b32 v24, v2, 7, v3
                                        ; implicit-def: $vgpr27
; %bb.322:
	s_andn2_saveexec_b64 s[0:1], s[0:1]
; %bb.323:
	v_mov_b32_e32 v24, v27
; %bb.324:
	s_or_b64 exec, exec, s[0:1]
.LBB9_325:
	s_or_b64 exec, exec, s[16:17]
.LBB9_326:
	s_andn2_saveexec_b64 s[0:1], s[14:15]
	s_or_b64 exec, exec, s[0:1]
                                        ; implicit-def: $vgpr28
                                        ; implicit-def: $vgpr2_vgpr3
.LBB9_327:
	s_andn2_saveexec_b64 s[0:1], s[8:9]
; %bb.328:
	s_movk_i32 s8, 0x7f
	v_or_b32_sdwa v27, v28, s8 dst_sel:DWORD dst_unused:UNUSED_PAD src0_sel:BYTE_3 src1_sel:DWORD
	v_cmp_eq_u64_e32 vcc, 0, v[2:3]
	v_cndmask_b32_e32 v24, v27, v24, vcc
; %bb.329:
	s_or_b64 exec, exec, s[0:1]
	v_mul_f32_e32 v2, v23, v22
	v_max_f32_e32 v2, 0xc3e00000, v2
	v_min_f32_e32 v27, 0x43e00000, v2
	v_mov_b32_e32 v3, 0
	s_movk_i32 s0, 0x80
	v_and_b32_sdwa v22, v27, s0 dst_sel:DWORD dst_unused:UNUSED_PAD src0_sel:BYTE_3 src1_sel:DWORD
	v_and_b32_e32 v28, 0x7f800000, v27
	v_mov_b32_e32 v29, v3
	s_mov_b64 s[0:1], 0x7f800000
	v_and_b32_e32 v2, 0x7fffff, v27
	v_or_b32_e32 v23, 0x7e, v22
	v_cmp_ne_u64_e32 vcc, s[0:1], v[28:29]
	s_and_saveexec_b64 s[0:1], vcc
	s_xor_b64 s[8:9], exec, s[0:1]
	s_cbranch_execz .LBB9_343
; %bb.330:
	v_and_b32_e32 v28, 0x7fffffff, v27
	v_mov_b32_e32 v29, v3
	s_mov_b64 s[0:1], 0x43e00001
	v_cmp_gt_u64_e32 vcc, s[0:1], v[28:29]
	s_and_saveexec_b64 s[0:1], vcc
	s_xor_b64 s[14:15], exec, s[0:1]
	s_cbranch_execz .LBB9_342
; %bb.331:
	v_cmp_ne_u32_e32 vcc, 0, v27
	v_mov_b32_e32 v23, 0
	s_and_saveexec_b64 s[16:17], vcc
	s_cbranch_execz .LBB9_341
; %bb.332:
	v_bfe_u32 v23, v27, 23, 8
	s_movk_i32 s0, 0x7a
	v_sub_u32_e32 v28, 0x79, v23
	v_cmp_gt_u32_e32 vcc, s0, v23
	v_add_u32_e32 v27, 0xffffff81, v23
	v_cndmask_b32_e32 v28, 0, v28, vcc
	v_mov_b32_e32 v30, 0xffffff82
	v_cmp_eq_u32_e32 vcc, 0, v23
	v_cndmask_b32_e32 v23, v27, v30, vcc
	v_mov_b32_e32 v27, 0x78
	v_cndmask_b32_e32 v27, v28, v27, vcc
	v_or_b32_e32 v29, 0x800000, v2
	v_add_u32_e32 v28, 20, v27
	v_cndmask_b32_e32 v2, v29, v2, vcc
	v_lshlrev_b64 v[28:29], v28, -1
	v_not_b32_e32 v28, v28
	v_and_b32_e32 v30, v2, v28
	v_add_u32_e32 v28, 19, v27
	v_lshrrev_b64 v[2:3], v27, v[2:3]
	v_not_b32_e32 v29, v29
	v_lshlrev_b64 v[32:33], v28, 1
	v_lshrrev_b32_e32 v28, 23, v2
	v_and_b32_e32 v31, 0, v29
	v_add3_u32 v28, v27, v23, v28
	v_bfe_u32 v27, v2, 20, 1
	v_add_u32_e32 v27, -1, v27
	v_cmp_eq_u64_e32 vcc, v[30:31], v[32:33]
	v_cndmask_b32_e32 v27, 0, v27, vcc
	v_add_u32_e32 v27, v27, v2
	v_and_b32_e32 v27, 0xfffff, v27
	v_add_co_u32_e32 v2, vcc, v27, v2
	v_add_u32_e32 v23, 6, v28
	v_addc_co_u32_e32 v3, vcc, 0, v3, vcc
	v_cmp_ne_u32_e32 vcc, 0, v23
                                        ; implicit-def: $vgpr27
	s_and_saveexec_b64 s[0:1], vcc
	s_xor_b64 s[0:1], exec, s[0:1]
; %bb.333:
	s_mov_b64 s[18:19], 0xffffff
	v_add_u32_e32 v27, 7, v28
	v_cmp_lt_u64_e32 vcc, s[18:19], v[2:3]
	v_cndmask_b32_e32 v27, v23, v27, vcc
	v_cndmask_b32_e64 v23, 0, 1, vcc
	v_lshrrev_b64 v[2:3], v23, v[2:3]
; %bb.334:
	s_andn2_saveexec_b64 s[0:1], s[0:1]
; %bb.335:
	v_bfe_u32 v27, v2, 23, 1
; %bb.336:
	s_or_b64 exec, exec, s[0:1]
	v_lshrrev_b64 v[2:3], 20, v[2:3]
	v_cmp_gt_i32_e32 vcc, 16, v27
	v_cndmask_b32_e32 v3, 0, v3, vcc
	v_cndmask_b32_e32 v2, 7, v2, vcc
	v_cmp_ne_u32_e32 vcc, 0, v27
	v_cmp_ne_u64_e64 s[0:1], 0, v[2:3]
	s_or_b64 s[0:1], vcc, s[0:1]
                                        ; implicit-def: $vgpr23
	s_and_saveexec_b64 s[18:19], s[0:1]
	s_xor_b64 s[0:1], exec, s[18:19]
; %bb.337:
	v_min_i32_e32 v3, 15, v27
	v_lshl_or_b32 v3, v3, 3, v22
	v_and_or_b32 v23, v2, 7, v3
                                        ; implicit-def: $vgpr22
; %bb.338:
	s_andn2_saveexec_b64 s[0:1], s[0:1]
; %bb.339:
	v_mov_b32_e32 v23, v22
; %bb.340:
	s_or_b64 exec, exec, s[0:1]
.LBB9_341:
	s_or_b64 exec, exec, s[16:17]
.LBB9_342:
	s_andn2_saveexec_b64 s[0:1], s[14:15]
	s_or_b64 exec, exec, s[0:1]
                                        ; implicit-def: $vgpr27
                                        ; implicit-def: $vgpr2_vgpr3
.LBB9_343:
	s_andn2_saveexec_b64 s[0:1], s[8:9]
; %bb.344:
	s_movk_i32 s8, 0x7f
	v_or_b32_sdwa v22, v27, s8 dst_sel:DWORD dst_unused:UNUSED_PAD src0_sel:BYTE_3 src1_sel:DWORD
	v_cmp_eq_u64_e32 vcc, 0, v[2:3]
	v_cndmask_b32_e32 v23, v22, v23, vcc
; %bb.345:
	s_or_b64 exec, exec, s[0:1]
	v_lshlrev_b64 v[2:3], 3, v[14:15]
	v_mov_b32_e32 v14, 0x240
	v_mad_i64_i32 v[14:15], s[0:1], s20, v14, v[16:17]
	v_add_co_u32_e32 v2, vcc, v14, v2
	v_lshlrev_b16_e32 v5, 8, v5
	v_addc_co_u32_e32 v3, vcc, v15, v3, vcc
	v_or_b32_sdwa v4, v4, v5 dst_sel:DWORD dst_unused:UNUSED_PAD src0_sel:BYTE_0 src1_sel:DWORD
	v_lshlrev_b16_e32 v5, 8, v7
	v_add_co_u32_e32 v14, vcc, v12, v46
	v_lshlrev_b16_e32 v9, 8, v9
	v_or_b32_sdwa v5, v6, v5 dst_sel:WORD_1 dst_unused:UNUSED_PAD src0_sel:BYTE_0 src1_sel:DWORD
	v_addc_co_u32_e32 v15, vcc, 0, v13, vcc
	v_lshlrev_b16_e32 v12, 8, v26
	v_lshlrev_b16_e32 v13, 8, v23
	v_or_b32_sdwa v8, v8, v9 dst_sel:DWORD dst_unused:UNUSED_PAD src0_sel:BYTE_0 src1_sel:DWORD
	v_lshlrev_b16_e32 v9, 8, v11
	v_or_b32_sdwa v11, v4, v5 dst_sel:DWORD dst_unused:UNUSED_PAD src0_sel:WORD_0 src1_sel:DWORD
	v_lshlrev_b16_e32 v1, 8, v1
	v_lshlrev_b16_e32 v4, 8, v18
	v_or_b32_sdwa v12, v19, v12 dst_sel:DWORD dst_unused:UNUSED_PAD src0_sel:BYTE_0 src1_sel:DWORD
	v_or_b32_sdwa v13, v24, v13 dst_sel:WORD_1 dst_unused:UNUSED_PAD src0_sel:BYTE_0 src1_sel:DWORD
	v_or_b32_sdwa v9, v10, v9 dst_sel:WORD_1 dst_unused:UNUSED_PAD src0_sel:BYTE_0 src1_sel:DWORD
	v_or_b32_sdwa v1, v21, v1 dst_sel:DWORD dst_unused:UNUSED_PAD src0_sel:BYTE_0 src1_sel:DWORD
	v_or_b32_sdwa v4, v25, v4 dst_sel:WORD_1 dst_unused:UNUSED_PAD src0_sel:BYTE_0 src1_sel:DWORD
	v_and_b32_e32 v0, 3, v0
	v_or_b32_sdwa v13, v12, v13 dst_sel:DWORD dst_unused:UNUSED_PAD src0_sel:WORD_0 src1_sel:DWORD
	v_or_b32_sdwa v12, v8, v9 dst_sel:DWORD dst_unused:UNUSED_PAD src0_sel:WORD_0 src1_sel:DWORD
	;; [unrolled: 1-line block ×3, first 2 shown]
	v_cmp_eq_u32_e32 vcc, 0, v0
	global_store_dwordx4 v[14:15], v[10:13], off
	s_and_saveexec_b64 s[0:1], vcc
	s_cbranch_execz .LBB9_347
; %bb.346:
	v_add_f32_e32 v1, 0x42fe0000, v20
	v_min_f32_e32 v1, 0x437f0000, v1
	v_max_f32_e32 v1, 0, v1
	v_cvt_i32_f32_e32 v4, v1
	v_lshrrev_b32_e32 v0, 2, v47
	v_add_co_u32_e32 v0, vcc, v2, v0
	v_addc_co_u32_e32 v1, vcc, 0, v3, vcc
	global_store_byte v[0:1], v4, off
.LBB9_347:
	s_or_b64 exec, exec, s[0:1]
	v_cmp_eq_u32_e32 vcc, 0, v47
	s_and_saveexec_b64 s[0:1], vcc
	s_cbranch_execz .LBB9_349
; %bb.348:
	v_mov_b32_e32 v0, 0
	global_store_byte v[2:3], v0, off offset:7
.LBB9_349:
	s_or_b64 exec, exec, s[0:1]
                                        ; implicit-def: $vgpr46
                                        ; implicit-def: $vgpr29
                                        ; implicit-def: $vgpr34
                                        ; implicit-def: $vgpr35
                                        ; implicit-def: $vgpr36
                                        ; implicit-def: $vgpr37
                                        ; implicit-def: $vgpr38
                                        ; implicit-def: $vgpr39
                                        ; implicit-def: $vgpr40
                                        ; implicit-def: $vgpr41
                                        ; implicit-def: $vgpr42
                                        ; implicit-def: $vgpr43
                                        ; implicit-def: $vgpr44
                                        ; implicit-def: $vgpr45
                                        ; implicit-def: $vgpr48
                                        ; implicit-def: $vgpr49
                                        ; implicit-def: $vgpr50
                                        ; implicit-def: $vgpr12_vgpr13
.LBB9_350:
	s_andn2_saveexec_b64 s[0:1], s[2:3]
                                        ; implicit-def: $vgpr11
	s_cbranch_execz .LBB9_352
; %bb.351:
	v_lshlrev_b32_e32 v0, 1, v46
	v_add_co_u32_e32 v4, vcc, v12, v0
	s_mov_b32 s0, 0x7060302
	v_addc_co_u32_e32 v5, vcc, 0, v13, vcc
	v_perm_b32 v3, v40, v39, s0
	v_perm_b32 v2, v38, v37, s0
	;; [unrolled: 1-line block ×4, first 2 shown]
	global_store_dwordx4 v[4:5], v[0:3], off offset:-448
	s_nop 0
	v_perm_b32 v3, v50, v49, s0
	v_perm_b32 v2, v48, v45, s0
	;; [unrolled: 1-line block ×4, first 2 shown]
	global_store_dwordx4 v[4:5], v[0:3], off offset:-432
.LBB9_352:
	s_or_b64 exec, exec, s[10:11]
                                        ; implicit-def: $vgpr10
                                        ; implicit-def: $vgpr44
                                        ; implicit-def: $vgpr46
                                        ; implicit-def: $vgpr12_vgpr13_vgpr14_vgpr15_vgpr16_vgpr17_vgpr18_vgpr19_vgpr20_vgpr21_vgpr22_vgpr23_vgpr24_vgpr25_vgpr26_vgpr27
	s_andn2_saveexec_b64 s[0:1], s[12:13]
	s_cbranch_execz .LBB9_17
.LBB9_353:
	s_mov_b32 s2, 0x7f800000
	v_and_b32_e32 v0, 0x7f800000, v12
	v_cmp_ne_u32_e32 vcc, s2, v0
                                        ; implicit-def: $vgpr0
	s_and_saveexec_b64 s[2:3], vcc
	s_xor_b64 s[2:3], exec, s[2:3]
; %bb.354:
	v_bfe_u32 v0, v12, 16, 1
	s_movk_i32 s8, 0x7fff
	v_add3_u32 v0, v12, v0, s8
; %bb.355:
	s_andn2_saveexec_b64 s[2:3], s[2:3]
; %bb.356:
	v_mov_b32_e32 v0, 0
	v_or_b32_e32 v1, 0x10000, v12
	v_cmp_eq_u32_sdwa vcc, v12, v0 src0_sel:WORD_0 src1_sel:DWORD
	v_cndmask_b32_e32 v0, v1, v12, vcc
; %bb.357:
	s_or_b64 exec, exec, s[2:3]
	s_mov_b32 s2, 0x7f800000
	v_and_b32_e32 v1, 0x7f800000, v13
	v_cmp_ne_u32_e32 vcc, s2, v1
                                        ; implicit-def: $vgpr1
	s_and_saveexec_b64 s[2:3], vcc
	s_xor_b64 s[2:3], exec, s[2:3]
; %bb.358:
	v_bfe_u32 v1, v13, 16, 1
	s_movk_i32 s8, 0x7fff
	v_add3_u32 v1, v13, v1, s8
; %bb.359:
	s_andn2_saveexec_b64 s[2:3], s[2:3]
; %bb.360:
	v_mov_b32_e32 v1, 0
	v_or_b32_e32 v2, 0x10000, v13
	v_cmp_eq_u32_sdwa vcc, v13, v1 src0_sel:WORD_0 src1_sel:DWORD
	v_cndmask_b32_e32 v1, v2, v13, vcc
; %bb.361:
	s_or_b64 exec, exec, s[2:3]
	s_mov_b32 s2, 0x7f800000
	v_and_b32_e32 v2, 0x7f800000, v14
	v_cmp_ne_u32_e32 vcc, s2, v2
                                        ; implicit-def: $vgpr2
	s_and_saveexec_b64 s[2:3], vcc
	s_xor_b64 s[2:3], exec, s[2:3]
; %bb.362:
	v_bfe_u32 v2, v14, 16, 1
	s_movk_i32 s8, 0x7fff
	v_add3_u32 v2, v14, v2, s8
; %bb.363:
	s_andn2_saveexec_b64 s[2:3], s[2:3]
; %bb.364:
	v_mov_b32_e32 v2, 0
	v_or_b32_e32 v3, 0x10000, v14
	v_cmp_eq_u32_sdwa vcc, v14, v2 src0_sel:WORD_0 src1_sel:DWORD
	v_cndmask_b32_e32 v2, v3, v14, vcc
; %bb.365:
	s_or_b64 exec, exec, s[2:3]
	s_mov_b32 s2, 0x7f800000
	v_and_b32_e32 v3, 0x7f800000, v15
	v_cmp_ne_u32_e32 vcc, s2, v3
                                        ; implicit-def: $vgpr3
	s_and_saveexec_b64 s[2:3], vcc
	s_xor_b64 s[2:3], exec, s[2:3]
; %bb.366:
	v_bfe_u32 v3, v15, 16, 1
	s_movk_i32 s8, 0x7fff
	v_add3_u32 v3, v15, v3, s8
; %bb.367:
	s_andn2_saveexec_b64 s[2:3], s[2:3]
; %bb.368:
	v_mov_b32_e32 v3, 0
	v_or_b32_e32 v4, 0x10000, v15
	v_cmp_eq_u32_sdwa vcc, v15, v3 src0_sel:WORD_0 src1_sel:DWORD
	v_cndmask_b32_e32 v3, v4, v15, vcc
; %bb.369:
	s_or_b64 exec, exec, s[2:3]
	s_mov_b32 s2, 0x7f800000
	v_and_b32_e32 v4, 0x7f800000, v16
	v_cmp_ne_u32_e32 vcc, s2, v4
                                        ; implicit-def: $vgpr4
	s_and_saveexec_b64 s[2:3], vcc
	s_xor_b64 s[2:3], exec, s[2:3]
; %bb.370:
	v_bfe_u32 v4, v16, 16, 1
	s_movk_i32 s8, 0x7fff
	v_add3_u32 v4, v16, v4, s8
; %bb.371:
	s_andn2_saveexec_b64 s[2:3], s[2:3]
; %bb.372:
	v_mov_b32_e32 v4, 0
	v_or_b32_e32 v5, 0x10000, v16
	v_cmp_eq_u32_sdwa vcc, v16, v4 src0_sel:WORD_0 src1_sel:DWORD
	v_cndmask_b32_e32 v4, v5, v16, vcc
; %bb.373:
	s_or_b64 exec, exec, s[2:3]
	s_mov_b32 s2, 0x7f800000
	v_and_b32_e32 v5, 0x7f800000, v17
	v_cmp_ne_u32_e32 vcc, s2, v5
                                        ; implicit-def: $vgpr5
	s_and_saveexec_b64 s[2:3], vcc
	s_xor_b64 s[2:3], exec, s[2:3]
; %bb.374:
	v_bfe_u32 v5, v17, 16, 1
	s_movk_i32 s8, 0x7fff
	v_add3_u32 v5, v17, v5, s8
; %bb.375:
	s_andn2_saveexec_b64 s[2:3], s[2:3]
; %bb.376:
	v_mov_b32_e32 v5, 0
	v_or_b32_e32 v6, 0x10000, v17
	v_cmp_eq_u32_sdwa vcc, v17, v5 src0_sel:WORD_0 src1_sel:DWORD
	v_cndmask_b32_e32 v5, v6, v17, vcc
; %bb.377:
	s_or_b64 exec, exec, s[2:3]
	s_mov_b32 s2, 0x7f800000
	v_and_b32_e32 v6, 0x7f800000, v18
	v_cmp_ne_u32_e32 vcc, s2, v6
                                        ; implicit-def: $vgpr6
	s_and_saveexec_b64 s[2:3], vcc
	s_xor_b64 s[2:3], exec, s[2:3]
; %bb.378:
	v_bfe_u32 v6, v18, 16, 1
	s_movk_i32 s8, 0x7fff
	v_add3_u32 v6, v18, v6, s8
; %bb.379:
	s_andn2_saveexec_b64 s[2:3], s[2:3]
; %bb.380:
	v_mov_b32_e32 v6, 0
	v_or_b32_e32 v7, 0x10000, v18
	v_cmp_eq_u32_sdwa vcc, v18, v6 src0_sel:WORD_0 src1_sel:DWORD
	v_cndmask_b32_e32 v6, v7, v18, vcc
; %bb.381:
	s_or_b64 exec, exec, s[2:3]
	s_mov_b32 s2, 0x7f800000
	s_waitcnt lgkmcnt(0)
	v_and_b32_e32 v7, 0x7f800000, v19
	v_cmp_ne_u32_e32 vcc, s2, v7
                                        ; implicit-def: $vgpr7
	s_and_saveexec_b64 s[2:3], vcc
	s_xor_b64 s[2:3], exec, s[2:3]
; %bb.382:
	v_bfe_u32 v7, v19, 16, 1
	s_movk_i32 s8, 0x7fff
	v_add3_u32 v7, v19, v7, s8
; %bb.383:
	s_andn2_saveexec_b64 s[2:3], s[2:3]
; %bb.384:
	v_mov_b32_e32 v7, 0
	v_or_b32_e32 v8, 0x10000, v19
	v_cmp_eq_u32_sdwa vcc, v19, v7 src0_sel:WORD_0 src1_sel:DWORD
	v_cndmask_b32_e32 v7, v8, v19, vcc
; %bb.385:
	s_or_b64 exec, exec, s[2:3]
	s_mov_b32 s2, 0x7f800000
	v_and_b32_e32 v8, 0x7f800000, v20
	v_cmp_ne_u32_e32 vcc, s2, v8
                                        ; implicit-def: $vgpr8
	s_and_saveexec_b64 s[2:3], vcc
	s_xor_b64 s[2:3], exec, s[2:3]
; %bb.386:
	v_bfe_u32 v8, v20, 16, 1
	s_movk_i32 s8, 0x7fff
	v_add3_u32 v8, v20, v8, s8
; %bb.387:
	s_andn2_saveexec_b64 s[2:3], s[2:3]
; %bb.388:
	v_mov_b32_e32 v8, 0
	v_or_b32_e32 v9, 0x10000, v20
	v_cmp_eq_u32_sdwa vcc, v20, v8 src0_sel:WORD_0 src1_sel:DWORD
	v_cndmask_b32_e32 v8, v9, v20, vcc
; %bb.389:
	s_or_b64 exec, exec, s[2:3]
	s_mov_b32 s2, 0x7f800000
	v_and_b32_e32 v9, 0x7f800000, v21
	v_cmp_ne_u32_e32 vcc, s2, v9
                                        ; implicit-def: $vgpr9
	s_and_saveexec_b64 s[2:3], vcc
	s_xor_b64 s[2:3], exec, s[2:3]
; %bb.390:
	v_bfe_u32 v9, v21, 16, 1
	s_movk_i32 s8, 0x7fff
	v_add3_u32 v9, v21, v9, s8
; %bb.391:
	s_andn2_saveexec_b64 s[2:3], s[2:3]
; %bb.392:
	v_mov_b32_e32 v9, 0
	v_or_b32_e32 v12, 0x10000, v21
	v_cmp_eq_u32_sdwa vcc, v21, v9 src0_sel:WORD_0 src1_sel:DWORD
	v_cndmask_b32_e32 v9, v12, v21, vcc
; %bb.393:
	s_or_b64 exec, exec, s[2:3]
	s_mov_b32 s2, 0x7f800000
	v_and_b32_e32 v12, 0x7f800000, v22
	v_cmp_ne_u32_e32 vcc, s2, v12
                                        ; implicit-def: $vgpr28
	s_and_saveexec_b64 s[2:3], vcc
	s_xor_b64 s[2:3], exec, s[2:3]
; %bb.394:
	v_bfe_u32 v12, v22, 16, 1
	s_movk_i32 s8, 0x7fff
	v_add3_u32 v28, v22, v12, s8
; %bb.395:
	s_andn2_saveexec_b64 s[2:3], s[2:3]
; %bb.396:
	v_mov_b32_e32 v12, 0
	v_or_b32_e32 v13, 0x10000, v22
	v_cmp_eq_u32_sdwa vcc, v22, v12 src0_sel:WORD_0 src1_sel:DWORD
	v_cndmask_b32_e32 v28, v13, v22, vcc
; %bb.397:
	s_or_b64 exec, exec, s[2:3]
	s_mov_b32 s2, 0x7f800000
	v_and_b32_e32 v12, 0x7f800000, v23
	v_cmp_ne_u32_e32 vcc, s2, v12
                                        ; implicit-def: $vgpr29
	s_and_saveexec_b64 s[2:3], vcc
	s_xor_b64 s[2:3], exec, s[2:3]
; %bb.398:
	v_bfe_u32 v12, v23, 16, 1
	s_movk_i32 s8, 0x7fff
	v_add3_u32 v29, v23, v12, s8
; %bb.399:
	s_andn2_saveexec_b64 s[2:3], s[2:3]
; %bb.400:
	v_mov_b32_e32 v12, 0
	v_or_b32_e32 v13, 0x10000, v23
	v_cmp_eq_u32_sdwa vcc, v23, v12 src0_sel:WORD_0 src1_sel:DWORD
	v_cndmask_b32_e32 v29, v13, v23, vcc
; %bb.401:
	s_or_b64 exec, exec, s[2:3]
	s_mov_b32 s2, 0x7f800000
	v_and_b32_e32 v12, 0x7f800000, v24
	v_cmp_ne_u32_e32 vcc, s2, v12
                                        ; implicit-def: $vgpr30
	s_and_saveexec_b64 s[2:3], vcc
	s_xor_b64 s[2:3], exec, s[2:3]
; %bb.402:
	v_bfe_u32 v12, v24, 16, 1
	s_movk_i32 s8, 0x7fff
	v_add3_u32 v30, v24, v12, s8
; %bb.403:
	s_andn2_saveexec_b64 s[2:3], s[2:3]
; %bb.404:
	v_mov_b32_e32 v12, 0
	v_or_b32_e32 v13, 0x10000, v24
	v_cmp_eq_u32_sdwa vcc, v24, v12 src0_sel:WORD_0 src1_sel:DWORD
	v_cndmask_b32_e32 v30, v13, v24, vcc
; %bb.405:
	s_or_b64 exec, exec, s[2:3]
	s_mov_b32 s2, 0x7f800000
	v_and_b32_e32 v12, 0x7f800000, v25
	v_cmp_ne_u32_e32 vcc, s2, v12
                                        ; implicit-def: $vgpr31
	s_and_saveexec_b64 s[2:3], vcc
	s_xor_b64 s[2:3], exec, s[2:3]
; %bb.406:
	v_bfe_u32 v12, v25, 16, 1
	s_movk_i32 s8, 0x7fff
	v_add3_u32 v31, v25, v12, s8
; %bb.407:
	s_andn2_saveexec_b64 s[2:3], s[2:3]
; %bb.408:
	v_mov_b32_e32 v12, 0
	v_or_b32_e32 v13, 0x10000, v25
	v_cmp_eq_u32_sdwa vcc, v25, v12 src0_sel:WORD_0 src1_sel:DWORD
	v_cndmask_b32_e32 v31, v13, v25, vcc
; %bb.409:
	s_or_b64 exec, exec, s[2:3]
	s_mov_b32 s2, 0x7f800000
	v_and_b32_e32 v12, 0x7f800000, v26
	v_cmp_ne_u32_e32 vcc, s2, v12
                                        ; implicit-def: $vgpr32
	s_and_saveexec_b64 s[2:3], vcc
	s_xor_b64 s[2:3], exec, s[2:3]
; %bb.410:
	v_bfe_u32 v12, v26, 16, 1
	s_movk_i32 s8, 0x7fff
	v_add3_u32 v32, v26, v12, s8
; %bb.411:
	s_andn2_saveexec_b64 s[2:3], s[2:3]
; %bb.412:
	v_mov_b32_e32 v12, 0
	v_or_b32_e32 v13, 0x10000, v26
	v_cmp_eq_u32_sdwa vcc, v26, v12 src0_sel:WORD_0 src1_sel:DWORD
	v_cndmask_b32_e32 v32, v13, v26, vcc
; %bb.413:
	s_or_b64 exec, exec, s[2:3]
	s_mov_b32 s2, 0x7f800000
	v_and_b32_e32 v12, 0x7f800000, v27
	v_cmp_ne_u32_e32 vcc, s2, v12
                                        ; implicit-def: $vgpr33
	s_and_saveexec_b64 s[2:3], vcc
	s_xor_b64 s[2:3], exec, s[2:3]
; %bb.414:
	v_bfe_u32 v12, v27, 16, 1
	s_movk_i32 s8, 0x7fff
	v_add3_u32 v33, v27, v12, s8
                                        ; implicit-def: $vgpr12_vgpr13_vgpr14_vgpr15_vgpr16_vgpr17_vgpr18_vgpr19_vgpr20_vgpr21_vgpr22_vgpr23_vgpr24_vgpr25_vgpr26_vgpr27
; %bb.415:
	s_andn2_saveexec_b64 s[2:3], s[2:3]
; %bb.416:
	v_mov_b32_e32 v12, 0
	v_or_b32_e32 v13, 0x10000, v27
	v_cmp_eq_u32_sdwa vcc, v27, v12 src0_sel:WORD_0 src1_sel:DWORD
	v_cndmask_b32_e32 v33, v13, v27, vcc
; %bb.417:
	s_or_b64 exec, exec, s[2:3]
	v_lshlrev_b64 v[10:11], 17, v[10:11]
	v_ashrrev_i32_e32 v45, 31, v44
	v_mov_b32_e32 v12, s7
	v_add_co_u32_e32 v13, vcc, s6, v10
	v_addc_co_u32_e32 v12, vcc, v12, v11, vcc
	v_lshlrev_b64 v[10:11], 10, v[44:45]
	v_add_co_u32_e32 v10, vcc, v13, v10
	v_addc_co_u32_e32 v11, vcc, v12, v11, vcc
	v_lshlrev_b32_e32 v12, 1, v46
	v_add_co_u32_e32 v10, vcc, v10, v12
	s_mov_b32 s2, 0x7060302
	v_addc_co_u32_e32 v11, vcc, 0, v11, vcc
	v_perm_b32 v7, v7, v6, s2
	v_perm_b32 v6, v5, v4, s2
	;; [unrolled: 1-line block ×8, first 2 shown]
	global_store_dwordx4 v[10:11], v[4:7], off
	global_store_dwordx4 v[10:11], v[0:3], off offset:16
	s_or_b64 exec, exec, s[0:1]
                                        ; implicit-def: $vgpr10
                                        ; implicit-def: $vgpr44
                                        ; implicit-def: $vgpr46
	s_andn2_saveexec_b64 s[0:1], s[4:5]
	s_cbranch_execnz .LBB9_9
	s_branch .LBB9_10
	.section	.rodata,"a",@progbits
	.p2align	6, 0x0
	.amdhsa_kernel _ZN4vllm21deepseek_v4_fused_ops47fusedDeepseekV4QNormRopeKVRopeQuantInsertKernelIN3c108BFloat16ELi128EEEvPKT_PS4_S6_PhPKlSA_PKffiiiii
		.amdhsa_group_segment_fixed_size 0
		.amdhsa_private_segment_fixed_size 0
		.amdhsa_kernarg_size 336
		.amdhsa_user_sgpr_count 6
		.amdhsa_user_sgpr_private_segment_buffer 1
		.amdhsa_user_sgpr_dispatch_ptr 0
		.amdhsa_user_sgpr_queue_ptr 0
		.amdhsa_user_sgpr_kernarg_segment_ptr 1
		.amdhsa_user_sgpr_dispatch_id 0
		.amdhsa_user_sgpr_flat_scratch_init 0
		.amdhsa_user_sgpr_kernarg_preload_length 0
		.amdhsa_user_sgpr_kernarg_preload_offset 0
		.amdhsa_user_sgpr_private_segment_size 0
		.amdhsa_uses_dynamic_stack 0
		.amdhsa_system_sgpr_private_segment_wavefront_offset 0
		.amdhsa_system_sgpr_workgroup_id_x 1
		.amdhsa_system_sgpr_workgroup_id_y 0
		.amdhsa_system_sgpr_workgroup_id_z 0
		.amdhsa_system_sgpr_workgroup_info 0
		.amdhsa_system_vgpr_workitem_id 0
		.amdhsa_next_free_vgpr 56
		.amdhsa_next_free_sgpr 28
		.amdhsa_accum_offset 56
		.amdhsa_reserve_vcc 1
		.amdhsa_reserve_flat_scratch 0
		.amdhsa_float_round_mode_32 0
		.amdhsa_float_round_mode_16_64 0
		.amdhsa_float_denorm_mode_32 3
		.amdhsa_float_denorm_mode_16_64 3
		.amdhsa_dx10_clamp 1
		.amdhsa_ieee_mode 1
		.amdhsa_fp16_overflow 0
		.amdhsa_tg_split 0
		.amdhsa_exception_fp_ieee_invalid_op 0
		.amdhsa_exception_fp_denorm_src 0
		.amdhsa_exception_fp_ieee_div_zero 0
		.amdhsa_exception_fp_ieee_overflow 0
		.amdhsa_exception_fp_ieee_underflow 0
		.amdhsa_exception_fp_ieee_inexact 0
		.amdhsa_exception_int_div_zero 0
	.end_amdhsa_kernel
	.section	.text._ZN4vllm21deepseek_v4_fused_ops47fusedDeepseekV4QNormRopeKVRopeQuantInsertKernelIN3c108BFloat16ELi128EEEvPKT_PS4_S6_PhPKlSA_PKffiiiii,"axG",@progbits,_ZN4vllm21deepseek_v4_fused_ops47fusedDeepseekV4QNormRopeKVRopeQuantInsertKernelIN3c108BFloat16ELi128EEEvPKT_PS4_S6_PhPKlSA_PKffiiiii,comdat
.Lfunc_end9:
	.size	_ZN4vllm21deepseek_v4_fused_ops47fusedDeepseekV4QNormRopeKVRopeQuantInsertKernelIN3c108BFloat16ELi128EEEvPKT_PS4_S6_PhPKlSA_PKffiiiii, .Lfunc_end9-_ZN4vllm21deepseek_v4_fused_ops47fusedDeepseekV4QNormRopeKVRopeQuantInsertKernelIN3c108BFloat16ELi128EEEvPKT_PS4_S6_PhPKlSA_PKffiiiii
                                        ; -- End function
	.section	.AMDGPU.csdata,"",@progbits
; Kernel info:
; codeLenInByte = 14136
; NumSgprs: 32
; NumVgprs: 56
; NumAgprs: 0
; TotalNumVgprs: 56
; ScratchSize: 0
; MemoryBound: 1
; FloatMode: 240
; IeeeMode: 1
; LDSByteSize: 0 bytes/workgroup (compile time only)
; SGPRBlocks: 3
; VGPRBlocks: 6
; NumSGPRsForWavesPerEU: 32
; NumVGPRsForWavesPerEU: 56
; AccumOffset: 56
; Occupancy: 8
; WaveLimiterHint : 1
; COMPUTE_PGM_RSRC2:SCRATCH_EN: 0
; COMPUTE_PGM_RSRC2:USER_SGPR: 6
; COMPUTE_PGM_RSRC2:TRAP_HANDLER: 0
; COMPUTE_PGM_RSRC2:TGID_X_EN: 1
; COMPUTE_PGM_RSRC2:TGID_Y_EN: 0
; COMPUTE_PGM_RSRC2:TGID_Z_EN: 0
; COMPUTE_PGM_RSRC2:TIDIG_COMP_CNT: 0
; COMPUTE_PGM_RSRC3_GFX90A:ACCUM_OFFSET: 13
; COMPUTE_PGM_RSRC3_GFX90A:TG_SPLIT: 0
	.section	.text._ZN4vllm21deepseek_v4_fused_ops30fusedDeepseekV4FullCacheKernelIN3c104HalfELb0ELb0EEEvPT_PhllPKS4_S6_PKlSA_PKfSC_SC_fiiiill,"axG",@progbits,_ZN4vllm21deepseek_v4_fused_ops30fusedDeepseekV4FullCacheKernelIN3c104HalfELb0ELb0EEEvPT_PhllPKS4_S6_PKlSA_PKfSC_SC_fiiiill,comdat
	.protected	_ZN4vllm21deepseek_v4_fused_ops30fusedDeepseekV4FullCacheKernelIN3c104HalfELb0ELb0EEEvPT_PhllPKS4_S6_PKlSA_PKfSC_SC_fiiiill ; -- Begin function _ZN4vllm21deepseek_v4_fused_ops30fusedDeepseekV4FullCacheKernelIN3c104HalfELb0ELb0EEEvPT_PhllPKS4_S6_PKlSA_PKfSC_SC_fiiiill
	.globl	_ZN4vllm21deepseek_v4_fused_ops30fusedDeepseekV4FullCacheKernelIN3c104HalfELb0ELb0EEEvPT_PhllPKS4_S6_PKlSA_PKfSC_SC_fiiiill
	.p2align	8
	.type	_ZN4vllm21deepseek_v4_fused_ops30fusedDeepseekV4FullCacheKernelIN3c104HalfELb0ELb0EEEvPT_PhllPKS4_S6_PKlSA_PKfSC_SC_fiiiill,@function
_ZN4vllm21deepseek_v4_fused_ops30fusedDeepseekV4FullCacheKernelIN3c104HalfELb0ELb0EEEvPT_PhllPKS4_S6_PKlSA_PKfSC_SC_fiiiill: ; @_ZN4vllm21deepseek_v4_fused_ops30fusedDeepseekV4FullCacheKernelIN3c104HalfELb0ELb0EEEvPT_PhllPKS4_S6_PKlSA_PKfSC_SC_fiiiill
; %bb.0:
	s_load_dwordx4 s[8:11], s[4:5], 0x58
	s_load_dword s1, s[4:5], 0x8c
	v_lshrrev_b32_e32 v2, 5, v0
	s_waitcnt lgkmcnt(0)
	s_add_i32 s0, s11, 1
	s_abs_i32 s2, s0
	v_cvt_f32_u32_e32 v1, s2
	s_bfe_u32 s1, s1, 0xb0005
	s_mul_i32 s6, s6, s1
	s_sub_i32 s1, 0, s2
	v_rcp_iflag_f32_e32 v3, v1
	v_add_u32_e32 v1, s6, v2
	v_sub_u32_e32 v4, 0, v1
	v_max_i32_e32 v4, v1, v4
	v_mul_f32_e32 v3, 0x4f7ffffe, v3
	v_cvt_u32_f32_e32 v3, v3
	v_xor_b32_e32 v2, s0, v1
	v_ashrrev_i32_e32 v2, 31, v2
	v_mul_lo_u32 v5, s1, v3
	v_mul_hi_u32 v5, v3, v5
	v_add_u32_e32 v3, v3, v5
	v_mul_hi_u32 v3, v4, v3
	v_mul_lo_u32 v5, v3, s2
	v_sub_u32_e32 v4, v4, v5
	v_add_u32_e32 v6, 1, v3
	v_cmp_le_u32_e32 vcc, s2, v4
	v_subrev_u32_e32 v5, s2, v4
	v_cndmask_b32_e32 v3, v3, v6, vcc
	v_cndmask_b32_e32 v4, v4, v5, vcc
	v_add_u32_e32 v5, 1, v3
	v_cmp_le_u32_e32 vcc, s2, v4
	v_cndmask_b32_e32 v3, v3, v5, vcc
	v_xor_b32_e32 v3, v3, v2
	v_sub_u32_e32 v32, v3, v2
	v_cmp_gt_i32_e32 vcc, s9, v32
	s_and_saveexec_b64 s[2:3], vcc
	s_cbranch_execz .LBB10_12
; %bb.1:
	s_load_dword s20, s[4:5], 0x68
	v_mul_lo_u32 v2, v32, s0
	v_sub_u32_e32 v34, v1, v2
	v_cmp_ne_u32_e64 s[0:1], s11, v34
	v_cmp_gt_i32_e64 s[2:3], s10, v32
	v_cmp_eq_u32_e32 vcc, s11, v34
	s_or_b64 s[2:3], s[2:3], s[0:1]
	s_and_b64 exec, exec, s[2:3]
	s_cbranch_execz .LBB10_12
; %bb.2:
	s_load_dwordx2 s[2:3], s[4:5], 0x20
	s_load_dwordx2 s[6:7], s[4:5], 0x0
	v_ashrrev_i32_e32 v33, 31, v32
	v_ashrrev_i32_e32 v35, 31, v34
	v_pk_mov_b32 v[4:5], v[32:33], v[32:33] op_sel:[0,1]
	s_waitcnt lgkmcnt(0)
	v_pk_mov_b32 v[2:3], s[2:3], s[2:3] op_sel:[0,1]
	s_and_saveexec_b64 s[2:3], s[0:1]
; %bb.3:
	v_mad_i64_i32 v[4:5], s[12:13], v32, s11, v[34:35]
	v_pk_mov_b32 v[2:3], s[6:7], s[6:7] op_sel:[0,1]
; %bb.4:
	s_or_b64 exec, exec, s[2:3]
	v_lshlrev_b32_e32 v0, 4, v0
	v_and_b32_e32 v16, 0x1f0, v0
	v_lshlrev_b64 v[0:1], 10, v[4:5]
	v_add_co_u32_e64 v0, s[2:3], v2, v0
	v_addc_co_u32_e64 v1, s[2:3], v3, v1, s[2:3]
	v_lshlrev_b32_e32 v38, 1, v16
	v_add_co_u32_e64 v0, s[2:3], v0, v38
	v_addc_co_u32_e64 v1, s[2:3], 0, v1, s[2:3]
	global_load_dwordx4 v[4:7], v[0:1], off
	global_load_dwordx4 v[12:15], v[0:1], off offset:16
	s_waitcnt vmcnt(1)
	v_cvt_f32_f16_e32 v0, v4
	v_cvt_f32_f16_sdwa v1, v4 dst_sel:DWORD dst_unused:UNUSED_PAD src0_sel:WORD_1
	v_cvt_f32_f16_e32 v2, v5
	v_cvt_f32_f16_sdwa v3, v5 dst_sel:DWORD dst_unused:UNUSED_PAD src0_sel:WORD_1
	;; [unrolled: 2-line block ×4, first 2 shown]
	s_waitcnt vmcnt(0)
	v_cvt_f32_f16_e32 v8, v12
	v_cvt_f32_f16_sdwa v9, v12 dst_sel:DWORD dst_unused:UNUSED_PAD src0_sel:WORD_1
	v_cvt_f32_f16_e32 v10, v13
	v_cvt_f32_f16_sdwa v11, v13 dst_sel:DWORD dst_unused:UNUSED_PAD src0_sel:WORD_1
	;; [unrolled: 2-line block ×4, first 2 shown]
	s_and_saveexec_b64 s[2:3], s[0:1]
	s_cbranch_execz .LBB10_6
; %bb.5:
	v_pk_mul_f32 v[18:19], v[0:1], v[0:1]
	v_pk_mul_f32 v[20:21], v[2:3], v[2:3]
	v_add_f32_e32 v17, v18, v19
	v_add_f32_e32 v17, v17, v20
	v_pk_mul_f32 v[22:23], v[4:5], v[4:5]
	v_add_f32_e32 v17, v17, v21
	v_add_f32_e32 v17, v17, v22
	;; [unrolled: 3-line block ×4, first 2 shown]
	v_pk_mul_f32 v[28:29], v[10:11], v[10:11]
	v_add_f32_e32 v17, v17, v27
	v_mbcnt_lo_u32_b32 v18, -1, 0
	v_add_f32_e32 v17, v17, v28
	v_mbcnt_hi_u32_b32 v18, -1, v18
	v_pk_mul_f32 v[30:31], v[12:13], v[12:13]
	v_add_f32_e32 v17, v17, v29
	v_and_b32_e32 v19, 0x60, v18
	v_add_f32_e32 v17, v17, v30
	v_add_u32_e32 v19, 32, v19
	v_xor_b32_e32 v20, 16, v18
	v_pk_mul_f32 v[36:37], v[14:15], v[14:15]
	v_add_f32_e32 v17, v17, v31
	v_cmp_lt_i32_e64 s[0:1], v20, v19
	v_add_f32_e32 v17, v17, v36
	v_cndmask_b32_e64 v20, v18, v20, s[0:1]
	v_add_f32_e32 v17, v17, v37
	v_lshlrev_b32_e32 v20, 2, v20
	ds_bpermute_b32 v20, v20, v17
	s_waitcnt lgkmcnt(0)
	v_add_f32_e32 v17, v17, v20
	v_xor_b32_e32 v20, 8, v18
	v_cmp_lt_i32_e64 s[0:1], v20, v19
	v_cndmask_b32_e64 v20, v18, v20, s[0:1]
	v_lshlrev_b32_e32 v20, 2, v20
	ds_bpermute_b32 v20, v20, v17
	s_waitcnt lgkmcnt(0)
	v_add_f32_e32 v17, v17, v20
	v_xor_b32_e32 v20, 4, v18
	v_cmp_lt_i32_e64 s[0:1], v20, v19
	v_cndmask_b32_e64 v20, v18, v20, s[0:1]
	;; [unrolled: 7-line block ×4, first 2 shown]
	v_lshlrev_b32_e32 v18, 2, v18
	ds_bpermute_b32 v18, v18, v17
	s_mov_b32 s0, 0x800000
	s_waitcnt lgkmcnt(0)
	v_add_f32_e32 v17, v17, v18
	v_mov_b32_e32 v18, s8
	v_fmac_f32_e32 v18, 0x3b000000, v17
	v_mul_f32_e32 v17, 0x4b800000, v18
	v_cmp_gt_f32_e64 s[0:1], s0, v18
	v_cndmask_b32_e64 v17, v18, v17, s[0:1]
	v_rsq_f32_e32 v17, v17
	v_mul_f32_e32 v18, 0x45800000, v17
	v_cndmask_b32_e64 v18, v17, v18, s[0:1]
	v_pk_mul_f32 v[14:15], v[18:19], v[14:15] op_sel_hi:[0,1]
	v_pk_mul_f32 v[12:13], v[18:19], v[12:13] op_sel_hi:[0,1]
	v_pk_mul_f32 v[10:11], v[18:19], v[10:11] op_sel_hi:[0,1]
	v_pk_mul_f32 v[8:9], v[18:19], v[8:9] op_sel_hi:[0,1]
	v_pk_mul_f32 v[6:7], v[18:19], v[6:7] op_sel_hi:[0,1]
	v_pk_mul_f32 v[4:5], v[18:19], v[4:5] op_sel_hi:[0,1]
	v_pk_mul_f32 v[2:3], v[18:19], v[2:3] op_sel_hi:[0,1]
	v_pk_mul_f32 v[0:1], v[18:19], v[0:1] op_sel_hi:[0,1]
.LBB10_6:
	s_or_b64 exec, exec, s[2:3]
	s_movk_i32 s0, 0x1bf
	v_cmp_lt_u32_e64 s[0:1], s0, v16
	v_lshlrev_b64 v[36:37], 3, v[32:33]
	s_and_saveexec_b64 s[2:3], s[0:1]
	s_cbranch_execz .LBB10_8
; %bb.7:
	s_load_dwordx4 s[12:15], s[4:5], 0x38
	v_add_u32_e32 v16, 0xfffffe40, v16
	v_lshrrev_b32_e32 v16, 1, v16
	s_waitcnt lgkmcnt(0)
	v_mov_b32_e32 v17, s13
	v_add_co_u32_e64 v18, s[0:1], s12, v36
	v_addc_co_u32_e64 v19, s[0:1], v17, v37, s[0:1]
	global_load_dwordx2 v[18:19], v[18:19], off
	v_mov_b32_e32 v17, 0
	v_mov_b32_e32 v20, s15
	v_lshlrev_b64 v[16:17], 2, v[16:17]
	s_waitcnt vmcnt(0)
	v_lshlrev_b64 v[18:19], 8, v[18:19]
	v_add_co_u32_e64 v18, s[0:1], s14, v18
	v_addc_co_u32_e64 v19, s[0:1], v20, v19, s[0:1]
	v_add_co_u32_e64 v16, s[0:1], v18, v16
	v_addc_co_u32_e64 v17, s[0:1], v19, v17, s[0:1]
	global_load_dwordx4 v[40:43], v[16:17], off offset:128
	global_load_dwordx4 v[44:47], v[16:17], off
	global_load_dwordx4 v[48:51], v[16:17], off offset:144
	global_load_dwordx4 v[52:55], v[16:17], off offset:16
	s_waitcnt vmcnt(3)
	v_mul_f32_e32 v16, v40, v1
	s_waitcnt vmcnt(2)
	v_mul_f32_e32 v17, v44, v1
	v_mul_f32_e32 v1, v41, v3
	;; [unrolled: 1-line block ×7, first 2 shown]
	s_waitcnt vmcnt(1)
	v_mul_f32_e32 v7, v48, v9
	s_waitcnt vmcnt(0)
	v_mul_f32_e32 v25, v52, v9
	v_mul_f32_e32 v9, v49, v11
	;; [unrolled: 1-line block ×7, first 2 shown]
	v_fma_f32 v16, v44, v0, -v16
	v_fmac_f32_e32 v17, v40, v0
	v_fma_f32 v18, v45, v2, -v1
	v_fmac_f32_e32 v19, v41, v2
	;; [unrolled: 2-line block ×8, first 2 shown]
	v_pk_mov_b32 v[0:1], v[16:17], v[16:17] op_sel:[0,1]
	v_pk_mov_b32 v[2:3], v[18:19], v[18:19] op_sel:[0,1]
	;; [unrolled: 1-line block ×8, first 2 shown]
.LBB10_8:
	s_or_b64 exec, exec, s[2:3]
	s_mov_b64 s[0:1], 0
                                        ; implicit-def: $vgpr23
                                        ; implicit-def: $vgpr19
                                        ; implicit-def: $vgpr24_vgpr25
	s_and_saveexec_b64 s[2:3], vcc
	s_xor_b64 s[8:9], exec, s[2:3]
	s_cbranch_execnz .LBB10_13
; %bb.9:
	s_andn2_saveexec_b64 s[2:3], s[8:9]
	s_cbranch_execnz .LBB10_20
.LBB10_10:
	s_or_b64 exec, exec, s[2:3]
	s_and_b64 exec, exec, s[0:1]
	s_cbranch_execz .LBB10_12
.LBB10_11:
	v_add_co_u32_e32 v0, vcc, v24, v38
	v_addc_co_u32_e32 v1, vcc, 0, v25, vcc
	global_store_dwordx4 v[0:1], v[16:19], off
	global_store_dwordx4 v[0:1], v[20:23], off offset:16
.LBB10_12:
	s_endpgm
.LBB10_13:
	s_load_dwordx2 s[0:1], s[4:5], 0x30
	s_mov_b64 s[16:17], 0
                                        ; implicit-def: $vgpr23
                                        ; implicit-def: $vgpr19
                                        ; implicit-def: $vgpr24_vgpr25
	s_waitcnt lgkmcnt(0)
	v_mov_b32_e32 v17, s1
	v_add_co_u32_e32 v16, vcc, s0, v36
	v_addc_co_u32_e32 v17, vcc, v17, v37, vcc
	global_load_dwordx2 v[16:17], v[16:17], off
	s_waitcnt vmcnt(0)
	v_cmp_lt_i64_e32 vcc, -1, v[16:17]
	s_and_saveexec_b64 s[12:13], vcc
	s_cbranch_execz .LBB10_19
; %bb.14:
	s_load_dwordx2 s[14:15], s[4:5], 0x28
	s_ashr_i32 s10, s20, 31
	v_or_b32_e32 v19, s10, v17
	v_mov_b32_e32 v18, 0
	v_cmp_ne_u64_e32 vcc, 0, v[18:19]
                                        ; implicit-def: $vgpr20_vgpr21
	s_and_saveexec_b64 s[0:1], vcc
	s_xor_b64 s[2:3], exec, s[0:1]
	s_cbranch_execz .LBB10_16
; %bb.15:
	s_add_u32 s0, s20, s10
	s_mov_b32 s16, s10
	s_mov_b32 s17, s10
	s_addc_u32 s1, s10, s10
	s_xor_b64 s[18:19], s[0:1], s[16:17]
	v_cvt_f32_u32_e32 v18, s18
	v_cvt_f32_u32_e32 v19, s19
	s_sub_u32 s0, 0, s18
	s_subb_u32 s1, 0, s19
	v_madmk_f32 v18, v19, 0x4f800000, v18
	v_rcp_f32_e32 v18, v18
	v_mul_f32_e32 v18, 0x5f7ffffc, v18
	v_mul_f32_e32 v19, 0x2f800000, v18
	v_trunc_f32_e32 v19, v19
	v_madmk_f32 v18, v19, 0xcf800000, v18
	v_cvt_u32_f32_e32 v19, v19
	v_cvt_u32_f32_e32 v18, v18
	v_mul_lo_u32 v20, s0, v19
	v_mul_hi_u32 v22, s0, v18
	v_mul_lo_u32 v21, s1, v18
	v_add_u32_e32 v20, v22, v20
	v_mul_lo_u32 v23, s0, v18
	v_add_u32_e32 v20, v20, v21
	v_mul_lo_u32 v22, v18, v20
	v_mul_hi_u32 v24, v18, v23
	v_mul_hi_u32 v21, v18, v20
	v_add_co_u32_e32 v22, vcc, v24, v22
	v_addc_co_u32_e32 v21, vcc, 0, v21, vcc
	v_mul_hi_u32 v25, v19, v23
	v_mul_lo_u32 v23, v19, v23
	v_add_co_u32_e32 v22, vcc, v22, v23
	v_mul_hi_u32 v24, v19, v20
	v_addc_co_u32_e32 v21, vcc, v21, v25, vcc
	v_addc_co_u32_e32 v22, vcc, 0, v24, vcc
	v_mul_lo_u32 v20, v19, v20
	v_add_co_u32_e32 v20, vcc, v21, v20
	v_addc_co_u32_e32 v21, vcc, 0, v22, vcc
	v_add_co_u32_e32 v18, vcc, v18, v20
	v_addc_co_u32_e32 v19, vcc, v19, v21, vcc
	v_mul_lo_u32 v20, s0, v19
	v_mul_hi_u32 v21, s0, v18
	v_add_u32_e32 v20, v21, v20
	v_mul_lo_u32 v21, s1, v18
	v_add_u32_e32 v20, v20, v21
	v_mul_lo_u32 v22, s0, v18
	v_mul_hi_u32 v23, v19, v22
	v_mul_lo_u32 v24, v19, v22
	v_mul_lo_u32 v26, v18, v20
	v_mul_hi_u32 v22, v18, v22
	v_mul_hi_u32 v25, v18, v20
	v_add_co_u32_e32 v22, vcc, v22, v26
	v_addc_co_u32_e32 v25, vcc, 0, v25, vcc
	v_add_co_u32_e32 v22, vcc, v22, v24
	v_mul_hi_u32 v21, v19, v20
	v_addc_co_u32_e32 v22, vcc, v25, v23, vcc
	v_addc_co_u32_e32 v21, vcc, 0, v21, vcc
	v_mul_lo_u32 v20, v19, v20
	v_add_co_u32_e32 v20, vcc, v22, v20
	v_addc_co_u32_e32 v21, vcc, 0, v21, vcc
	v_add_co_u32_e32 v20, vcc, v18, v20
	v_addc_co_u32_e32 v21, vcc, v19, v21, vcc
	v_ashrrev_i32_e32 v22, 31, v17
	v_add_co_u32_e32 v18, vcc, v16, v22
	v_addc_co_u32_e32 v19, vcc, v17, v22, vcc
	v_xor_b32_e32 v24, v18, v22
	v_xor_b32_e32 v23, v19, v22
	v_mad_u64_u32 v[18:19], s[0:1], v24, v21, 0
	v_mul_hi_u32 v25, v24, v20
	v_add_co_u32_e32 v25, vcc, v25, v18
	v_addc_co_u32_e32 v26, vcc, 0, v19, vcc
	v_mad_u64_u32 v[18:19], s[0:1], v23, v21, 0
	v_mad_u64_u32 v[20:21], s[0:1], v23, v20, 0
	v_add_co_u32_e32 v20, vcc, v25, v20
	v_addc_co_u32_e32 v20, vcc, v26, v21, vcc
	v_addc_co_u32_e32 v19, vcc, 0, v19, vcc
	v_add_co_u32_e32 v20, vcc, v20, v18
	v_addc_co_u32_e32 v21, vcc, 0, v19, vcc
	v_mul_lo_u32 v25, s19, v20
	v_mul_lo_u32 v26, s18, v21
	v_mad_u64_u32 v[18:19], s[0:1], s18, v20, 0
	v_add3_u32 v19, v19, v26, v25
	v_sub_u32_e32 v25, v23, v19
	v_mov_b32_e32 v26, s19
	v_sub_co_u32_e32 v18, vcc, v24, v18
	v_subb_co_u32_e64 v24, s[0:1], v25, v26, vcc
	v_subrev_co_u32_e64 v25, s[0:1], s18, v18
	v_subbrev_co_u32_e64 v24, s[0:1], 0, v24, s[0:1]
	v_cmp_le_u32_e64 s[0:1], s19, v24
	v_cndmask_b32_e64 v26, 0, -1, s[0:1]
	v_cmp_le_u32_e64 s[0:1], s18, v25
	v_cndmask_b32_e64 v25, 0, -1, s[0:1]
	v_cmp_eq_u32_e64 s[0:1], s19, v24
	v_cndmask_b32_e64 v24, v26, v25, s[0:1]
	v_add_co_u32_e64 v25, s[0:1], 2, v20
	v_subb_co_u32_e32 v19, vcc, v23, v19, vcc
	v_addc_co_u32_e64 v26, s[0:1], 0, v21, s[0:1]
	v_cmp_le_u32_e32 vcc, s19, v19
	v_add_co_u32_e64 v27, s[0:1], 1, v20
	v_cndmask_b32_e64 v23, 0, -1, vcc
	v_cmp_le_u32_e32 vcc, s18, v18
	v_addc_co_u32_e64 v28, s[0:1], 0, v21, s[0:1]
	v_cndmask_b32_e64 v18, 0, -1, vcc
	v_cmp_eq_u32_e32 vcc, s19, v19
	v_cmp_ne_u32_e64 s[0:1], 0, v24
	v_cndmask_b32_e32 v18, v23, v18, vcc
	v_cmp_ne_u32_e32 vcc, 0, v18
	v_cndmask_b32_e64 v19, v27, v25, s[0:1]
	v_cndmask_b32_e64 v24, v28, v26, s[0:1]
	v_cndmask_b32_e32 v19, v20, v19, vcc
	v_xor_b32_e32 v20, s16, v22
	v_cndmask_b32_e32 v18, v21, v24, vcc
	v_xor_b32_e32 v21, s17, v22
	v_xor_b32_e32 v19, v19, v20
	v_xor_b32_e32 v18, v18, v21
	v_sub_co_u32_e32 v20, vcc, v19, v20
	v_subb_co_u32_e32 v21, vcc, v18, v21, vcc
.LBB10_16:
	s_andn2_saveexec_b64 s[0:1], s[2:3]
	s_cbranch_execz .LBB10_18
; %bb.17:
	v_cvt_f32_u32_e32 v18, s20
	s_sub_i32 s2, 0, s20
	v_rcp_iflag_f32_e32 v18, v18
	v_mul_f32_e32 v18, 0x4f7ffffe, v18
	v_cvt_u32_f32_e32 v18, v18
	v_mul_lo_u32 v19, s2, v18
	v_mul_hi_u32 v19, v18, v19
	v_add_u32_e32 v18, v18, v19
	v_mul_hi_u32 v18, v16, v18
	v_mul_lo_u32 v19, v18, s20
	v_sub_u32_e32 v19, v16, v19
	v_add_u32_e32 v20, 1, v18
	v_subrev_u32_e32 v21, s20, v19
	v_cmp_le_u32_e32 vcc, s20, v19
	v_cndmask_b32_e32 v19, v19, v21, vcc
	v_cndmask_b32_e32 v18, v18, v20, vcc
	v_add_u32_e32 v20, 1, v18
	v_cmp_le_u32_e32 vcc, s20, v19
	v_cndmask_b32_e32 v20, v18, v20, vcc
	v_mov_b32_e32 v21, 0
.LBB10_18:
	s_or_b64 exec, exec, s[0:1]
	s_load_dwordx4 s[0:3], s[4:5], 0x70
	v_cvt_f16_f32_e32 v0, v0
	v_cvt_f16_f32_e32 v1, v1
	;; [unrolled: 1-line block ×8, first 2 shown]
	v_mul_lo_u32 v22, v21, s20
	v_mul_lo_u32 v23, v20, s10
	v_mad_u64_u32 v[18:19], s[4:5], v20, s20, 0
	v_add3_u32 v19, v19, v23, v22
	v_sub_co_u32_e32 v26, vcc, v16, v18
	v_pack_b32_f16 v16, v0, v1
	s_waitcnt lgkmcnt(0)
	v_pk_mov_b32 v[0:1], s[14:15], s[14:15] op_sel:[0,1]
	v_subb_co_u32_e32 v27, vcc, v17, v19, vcc
	v_pack_b32_f16 v17, v2, v3
	v_mad_u64_u32 v[0:1], s[4:5], v20, s0, v[0:1]
	v_mul_lo_u32 v2, v20, s1
	v_mul_lo_u32 v3, v21, s0
	v_pack_b32_f16 v18, v4, v5
	v_pack_b32_f16 v19, v6, v7
	v_add3_u32 v1, v3, v1, v2
	v_cvt_f16_f32_e32 v2, v8
	v_cvt_f16_f32_e32 v3, v9
	;; [unrolled: 1-line block ×8, first 2 shown]
	v_mad_u64_u32 v[24:25], s[0:1], v26, s2, v[0:1]
	v_mul_lo_u32 v0, v26, s3
	v_mul_lo_u32 v1, v27, s2
	s_mov_b64 s[16:17], exec
	v_pack_b32_f16 v20, v2, v3
	v_pack_b32_f16 v21, v4, v5
	;; [unrolled: 1-line block ×4, first 2 shown]
	v_add3_u32 v25, v1, v25, v0
.LBB10_19:
	s_or_b64 exec, exec, s[12:13]
	s_and_b64 s[0:1], s[16:17], exec
                                        ; implicit-def: $vgpr0_vgpr1_vgpr2_vgpr3_vgpr4_vgpr5_vgpr6_vgpr7_vgpr8_vgpr9_vgpr10_vgpr11_vgpr12_vgpr13_vgpr14_vgpr15
                                        ; implicit-def: $vgpr34
                                        ; implicit-def: $vgpr32_vgpr33
	s_andn2_saveexec_b64 s[2:3], s[8:9]
	s_cbranch_execz .LBB10_10
.LBB10_20:
	v_cvt_f16_f32_e32 v0, v0
	v_cvt_f16_f32_e32 v1, v1
	;; [unrolled: 1-line block ×8, first 2 shown]
	v_pack_b32_f16 v16, v0, v1
	v_cvt_f16_f32_e32 v0, v8
	v_cvt_f16_f32_e32 v1, v9
	v_pack_b32_f16 v17, v2, v3
	v_cvt_f16_f32_e32 v2, v10
	v_cvt_f16_f32_e32 v3, v11
	v_pack_b32_f16 v18, v4, v5
	v_pack_b32_f16 v19, v6, v7
	v_cvt_f16_f32_e32 v4, v12
	v_cvt_f16_f32_e32 v5, v13
	;; [unrolled: 1-line block ×4, first 2 shown]
	v_pack_b32_f16 v20, v0, v1
	v_mad_i64_i32 v[0:1], s[4:5], v32, s11, v[34:35]
	v_lshlrev_b64 v[0:1], 10, v[0:1]
	v_pack_b32_f16 v21, v2, v3
	v_mov_b32_e32 v2, s7
	v_add_co_u32_e32 v24, vcc, s6, v0
	v_pack_b32_f16 v22, v4, v5
	v_pack_b32_f16 v23, v6, v7
	v_addc_co_u32_e32 v25, vcc, v2, v1, vcc
	s_or_b64 s[0:1], s[0:1], exec
	s_or_b64 exec, exec, s[2:3]
	s_and_b64 exec, exec, s[0:1]
	s_cbranch_execnz .LBB10_11
	s_branch .LBB10_12
	.section	.rodata,"a",@progbits
	.p2align	6, 0x0
	.amdhsa_kernel _ZN4vllm21deepseek_v4_fused_ops30fusedDeepseekV4FullCacheKernelIN3c104HalfELb0ELb0EEEvPT_PhllPKS4_S6_PKlSA_PKfSC_SC_fiiiill
		.amdhsa_group_segment_fixed_size 0
		.amdhsa_private_segment_fixed_size 0
		.amdhsa_kernarg_size 384
		.amdhsa_user_sgpr_count 6
		.amdhsa_user_sgpr_private_segment_buffer 1
		.amdhsa_user_sgpr_dispatch_ptr 0
		.amdhsa_user_sgpr_queue_ptr 0
		.amdhsa_user_sgpr_kernarg_segment_ptr 1
		.amdhsa_user_sgpr_dispatch_id 0
		.amdhsa_user_sgpr_flat_scratch_init 0
		.amdhsa_user_sgpr_kernarg_preload_length 0
		.amdhsa_user_sgpr_kernarg_preload_offset 0
		.amdhsa_user_sgpr_private_segment_size 0
		.amdhsa_uses_dynamic_stack 0
		.amdhsa_system_sgpr_private_segment_wavefront_offset 0
		.amdhsa_system_sgpr_workgroup_id_x 1
		.amdhsa_system_sgpr_workgroup_id_y 0
		.amdhsa_system_sgpr_workgroup_id_z 0
		.amdhsa_system_sgpr_workgroup_info 0
		.amdhsa_system_vgpr_workitem_id 0
		.amdhsa_next_free_vgpr 56
		.amdhsa_next_free_sgpr 21
		.amdhsa_accum_offset 56
		.amdhsa_reserve_vcc 1
		.amdhsa_reserve_flat_scratch 0
		.amdhsa_float_round_mode_32 0
		.amdhsa_float_round_mode_16_64 0
		.amdhsa_float_denorm_mode_32 3
		.amdhsa_float_denorm_mode_16_64 3
		.amdhsa_dx10_clamp 1
		.amdhsa_ieee_mode 1
		.amdhsa_fp16_overflow 0
		.amdhsa_tg_split 0
		.amdhsa_exception_fp_ieee_invalid_op 0
		.amdhsa_exception_fp_denorm_src 0
		.amdhsa_exception_fp_ieee_div_zero 0
		.amdhsa_exception_fp_ieee_overflow 0
		.amdhsa_exception_fp_ieee_underflow 0
		.amdhsa_exception_fp_ieee_inexact 0
		.amdhsa_exception_int_div_zero 0
	.end_amdhsa_kernel
	.section	.text._ZN4vllm21deepseek_v4_fused_ops30fusedDeepseekV4FullCacheKernelIN3c104HalfELb0ELb0EEEvPT_PhllPKS4_S6_PKlSA_PKfSC_SC_fiiiill,"axG",@progbits,_ZN4vllm21deepseek_v4_fused_ops30fusedDeepseekV4FullCacheKernelIN3c104HalfELb0ELb0EEEvPT_PhllPKS4_S6_PKlSA_PKfSC_SC_fiiiill,comdat
.Lfunc_end10:
	.size	_ZN4vllm21deepseek_v4_fused_ops30fusedDeepseekV4FullCacheKernelIN3c104HalfELb0ELb0EEEvPT_PhllPKS4_S6_PKlSA_PKfSC_SC_fiiiill, .Lfunc_end10-_ZN4vllm21deepseek_v4_fused_ops30fusedDeepseekV4FullCacheKernelIN3c104HalfELb0ELb0EEEvPT_PhllPKS4_S6_PKlSA_PKfSC_SC_fiiiill
                                        ; -- End function
	.section	.AMDGPU.csdata,"",@progbits
; Kernel info:
; codeLenInByte = 2776
; NumSgprs: 25
; NumVgprs: 56
; NumAgprs: 0
; TotalNumVgprs: 56
; ScratchSize: 0
; MemoryBound: 0
; FloatMode: 240
; IeeeMode: 1
; LDSByteSize: 0 bytes/workgroup (compile time only)
; SGPRBlocks: 3
; VGPRBlocks: 6
; NumSGPRsForWavesPerEU: 25
; NumVGPRsForWavesPerEU: 56
; AccumOffset: 56
; Occupancy: 8
; WaveLimiterHint : 1
; COMPUTE_PGM_RSRC2:SCRATCH_EN: 0
; COMPUTE_PGM_RSRC2:USER_SGPR: 6
; COMPUTE_PGM_RSRC2:TRAP_HANDLER: 0
; COMPUTE_PGM_RSRC2:TGID_X_EN: 1
; COMPUTE_PGM_RSRC2:TGID_Y_EN: 0
; COMPUTE_PGM_RSRC2:TGID_Z_EN: 0
; COMPUTE_PGM_RSRC2:TIDIG_COMP_CNT: 0
; COMPUTE_PGM_RSRC3_GFX90A:ACCUM_OFFSET: 13
; COMPUTE_PGM_RSRC3_GFX90A:TG_SPLIT: 0
	.section	.text._ZN4vllm21deepseek_v4_fused_ops30fusedDeepseekV4FullCacheKernelIN3c108BFloat16ELb0ELb0EEEvPT_PhllPKS4_S6_PKlSA_PKfSC_SC_fiiiill,"axG",@progbits,_ZN4vllm21deepseek_v4_fused_ops30fusedDeepseekV4FullCacheKernelIN3c108BFloat16ELb0ELb0EEEvPT_PhllPKS4_S6_PKlSA_PKfSC_SC_fiiiill,comdat
	.protected	_ZN4vllm21deepseek_v4_fused_ops30fusedDeepseekV4FullCacheKernelIN3c108BFloat16ELb0ELb0EEEvPT_PhllPKS4_S6_PKlSA_PKfSC_SC_fiiiill ; -- Begin function _ZN4vllm21deepseek_v4_fused_ops30fusedDeepseekV4FullCacheKernelIN3c108BFloat16ELb0ELb0EEEvPT_PhllPKS4_S6_PKlSA_PKfSC_SC_fiiiill
	.globl	_ZN4vllm21deepseek_v4_fused_ops30fusedDeepseekV4FullCacheKernelIN3c108BFloat16ELb0ELb0EEEvPT_PhllPKS4_S6_PKlSA_PKfSC_SC_fiiiill
	.p2align	8
	.type	_ZN4vllm21deepseek_v4_fused_ops30fusedDeepseekV4FullCacheKernelIN3c108BFloat16ELb0ELb0EEEvPT_PhllPKS4_S6_PKlSA_PKfSC_SC_fiiiill,@function
_ZN4vllm21deepseek_v4_fused_ops30fusedDeepseekV4FullCacheKernelIN3c108BFloat16ELb0ELb0EEEvPT_PhllPKS4_S6_PKlSA_PKfSC_SC_fiiiill: ; @_ZN4vllm21deepseek_v4_fused_ops30fusedDeepseekV4FullCacheKernelIN3c108BFloat16ELb0ELb0EEEvPT_PhllPKS4_S6_PKlSA_PKfSC_SC_fiiiill
; %bb.0:
	s_load_dwordx4 s[8:11], s[4:5], 0x58
	s_load_dword s1, s[4:5], 0x8c
	v_lshrrev_b32_e32 v2, 5, v0
	s_waitcnt lgkmcnt(0)
	s_add_i32 s0, s11, 1
	s_abs_i32 s2, s0
	v_cvt_f32_u32_e32 v1, s2
	s_bfe_u32 s1, s1, 0xb0005
	s_mul_i32 s6, s6, s1
	s_sub_i32 s1, 0, s2
	v_rcp_iflag_f32_e32 v3, v1
	v_add_u32_e32 v1, s6, v2
	v_sub_u32_e32 v4, 0, v1
	v_max_i32_e32 v4, v1, v4
	v_mul_f32_e32 v3, 0x4f7ffffe, v3
	v_cvt_u32_f32_e32 v3, v3
	v_xor_b32_e32 v2, s0, v1
	v_ashrrev_i32_e32 v2, 31, v2
	v_mul_lo_u32 v5, s1, v3
	v_mul_hi_u32 v5, v3, v5
	v_add_u32_e32 v3, v3, v5
	v_mul_hi_u32 v3, v4, v3
	v_mul_lo_u32 v5, v3, s2
	v_sub_u32_e32 v4, v4, v5
	v_add_u32_e32 v6, 1, v3
	v_cmp_le_u32_e32 vcc, s2, v4
	v_subrev_u32_e32 v5, s2, v4
	v_cndmask_b32_e32 v3, v3, v6, vcc
	v_cndmask_b32_e32 v4, v4, v5, vcc
	v_add_u32_e32 v5, 1, v3
	v_cmp_le_u32_e32 vcc, s2, v4
	v_cndmask_b32_e32 v3, v3, v5, vcc
	v_xor_b32_e32 v3, v3, v2
	v_sub_u32_e32 v32, v3, v2
	v_cmp_gt_i32_e32 vcc, s9, v32
	s_and_saveexec_b64 s[2:3], vcc
	s_cbranch_execz .LBB11_12
; %bb.1:
	s_load_dword s18, s[4:5], 0x68
	v_mul_lo_u32 v2, v32, s0
	v_sub_u32_e32 v34, v1, v2
	v_cmp_ne_u32_e64 s[0:1], s11, v34
	v_cmp_gt_i32_e64 s[2:3], s10, v32
	v_cmp_eq_u32_e32 vcc, s11, v34
	s_or_b64 s[2:3], s[2:3], s[0:1]
	s_and_b64 exec, exec, s[2:3]
	s_cbranch_execz .LBB11_12
; %bb.2:
	s_load_dwordx2 s[2:3], s[4:5], 0x20
	s_load_dwordx2 s[6:7], s[4:5], 0x0
	v_ashrrev_i32_e32 v33, 31, v32
	v_ashrrev_i32_e32 v35, 31, v34
	v_pk_mov_b32 v[4:5], v[32:33], v[32:33] op_sel:[0,1]
	s_waitcnt lgkmcnt(0)
	v_pk_mov_b32 v[2:3], s[2:3], s[2:3] op_sel:[0,1]
	s_and_saveexec_b64 s[2:3], s[0:1]
; %bb.3:
	v_mad_i64_i32 v[4:5], s[12:13], v32, s11, v[34:35]
	v_pk_mov_b32 v[2:3], s[6:7], s[6:7] op_sel:[0,1]
; %bb.4:
	s_or_b64 exec, exec, s[2:3]
	v_lshlrev_b32_e32 v0, 4, v0
	v_and_b32_e32 v16, 0x1f0, v0
	v_lshlrev_b64 v[0:1], 10, v[4:5]
	v_add_co_u32_e64 v0, s[2:3], v2, v0
	v_addc_co_u32_e64 v1, s[2:3], v3, v1, s[2:3]
	v_lshlrev_b32_e32 v40, 1, v16
	v_add_co_u32_e64 v0, s[2:3], v0, v40
	v_addc_co_u32_e64 v1, s[2:3], 0, v1, s[2:3]
	global_load_dwordx4 v[6:9], v[0:1], off
	global_load_dwordx4 v[18:21], v[0:1], off offset:16
	s_waitcnt vmcnt(1)
	v_and_b32_e32 v1, 0xffff0000, v6
	v_lshlrev_b32_e32 v0, 16, v6
	v_and_b32_e32 v3, 0xffff0000, v7
	v_lshlrev_b32_e32 v2, 16, v7
	;; [unrolled: 2-line block ×4, first 2 shown]
	s_waitcnt vmcnt(0)
	v_and_b32_e32 v9, 0xffff0000, v18
	v_lshlrev_b32_e32 v8, 16, v18
	v_and_b32_e32 v11, 0xffff0000, v19
	v_lshlrev_b32_e32 v10, 16, v19
	;; [unrolled: 2-line block ×4, first 2 shown]
	s_and_saveexec_b64 s[2:3], s[0:1]
	s_cbranch_execz .LBB11_6
; %bb.5:
	v_pk_mul_f32 v[18:19], v[0:1], v[0:1]
	v_pk_mul_f32 v[20:21], v[2:3], v[2:3]
	v_add_f32_e32 v17, v18, v19
	v_add_f32_e32 v17, v17, v20
	v_pk_mul_f32 v[22:23], v[4:5], v[4:5]
	v_add_f32_e32 v17, v17, v21
	v_add_f32_e32 v17, v17, v22
	;; [unrolled: 3-line block ×4, first 2 shown]
	v_pk_mul_f32 v[28:29], v[10:11], v[10:11]
	v_add_f32_e32 v17, v17, v27
	v_mbcnt_lo_u32_b32 v18, -1, 0
	v_add_f32_e32 v17, v17, v28
	v_mbcnt_hi_u32_b32 v18, -1, v18
	v_pk_mul_f32 v[30:31], v[12:13], v[12:13]
	v_add_f32_e32 v17, v17, v29
	v_and_b32_e32 v19, 0x60, v18
	v_add_f32_e32 v17, v17, v30
	v_add_u32_e32 v19, 32, v19
	v_xor_b32_e32 v20, 16, v18
	v_pk_mul_f32 v[36:37], v[14:15], v[14:15]
	v_add_f32_e32 v17, v17, v31
	v_cmp_lt_i32_e64 s[0:1], v20, v19
	v_add_f32_e32 v17, v17, v36
	v_cndmask_b32_e64 v20, v18, v20, s[0:1]
	v_add_f32_e32 v17, v17, v37
	v_lshlrev_b32_e32 v20, 2, v20
	ds_bpermute_b32 v20, v20, v17
	s_waitcnt lgkmcnt(0)
	v_add_f32_e32 v17, v17, v20
	v_xor_b32_e32 v20, 8, v18
	v_cmp_lt_i32_e64 s[0:1], v20, v19
	v_cndmask_b32_e64 v20, v18, v20, s[0:1]
	v_lshlrev_b32_e32 v20, 2, v20
	ds_bpermute_b32 v20, v20, v17
	s_waitcnt lgkmcnt(0)
	v_add_f32_e32 v17, v17, v20
	v_xor_b32_e32 v20, 4, v18
	v_cmp_lt_i32_e64 s[0:1], v20, v19
	v_cndmask_b32_e64 v20, v18, v20, s[0:1]
	v_lshlrev_b32_e32 v20, 2, v20
	ds_bpermute_b32 v20, v20, v17
	s_waitcnt lgkmcnt(0)
	v_add_f32_e32 v17, v17, v20
	v_xor_b32_e32 v20, 2, v18
	v_cmp_lt_i32_e64 s[0:1], v20, v19
	v_cndmask_b32_e64 v20, v18, v20, s[0:1]
	v_lshlrev_b32_e32 v20, 2, v20
	ds_bpermute_b32 v20, v20, v17
	s_waitcnt lgkmcnt(0)
	v_add_f32_e32 v17, v17, v20
	v_xor_b32_e32 v20, 1, v18
	v_cmp_lt_i32_e64 s[0:1], v20, v19
	v_cndmask_b32_e64 v18, v18, v20, s[0:1]
	v_lshlrev_b32_e32 v18, 2, v18
	ds_bpermute_b32 v18, v18, v17
	s_mov_b32 s0, 0x800000
	s_waitcnt lgkmcnt(0)
	v_add_f32_e32 v17, v17, v18
	v_mov_b32_e32 v18, s8
	v_fmac_f32_e32 v18, 0x3b000000, v17
	v_mul_f32_e32 v17, 0x4b800000, v18
	v_cmp_gt_f32_e64 s[0:1], s0, v18
	v_cndmask_b32_e64 v17, v18, v17, s[0:1]
	v_rsq_f32_e32 v17, v17
	v_mul_f32_e32 v18, 0x45800000, v17
	v_cndmask_b32_e64 v18, v17, v18, s[0:1]
	v_pk_mul_f32 v[14:15], v[18:19], v[14:15] op_sel_hi:[0,1]
	v_pk_mul_f32 v[12:13], v[18:19], v[12:13] op_sel_hi:[0,1]
	;; [unrolled: 1-line block ×8, first 2 shown]
.LBB11_6:
	s_or_b64 exec, exec, s[2:3]
	s_movk_i32 s0, 0x1bf
	v_cmp_lt_u32_e64 s[0:1], s0, v16
	v_lshlrev_b64 v[38:39], 3, v[32:33]
	s_and_saveexec_b64 s[2:3], s[0:1]
	s_cbranch_execz .LBB11_8
; %bb.7:
	s_load_dwordx4 s[12:15], s[4:5], 0x38
	v_add_u32_e32 v16, 0xfffffe40, v16
	v_lshrrev_b32_e32 v16, 1, v16
	s_waitcnt lgkmcnt(0)
	v_mov_b32_e32 v17, s13
	v_add_co_u32_e64 v18, s[0:1], s12, v38
	v_addc_co_u32_e64 v19, s[0:1], v17, v39, s[0:1]
	global_load_dwordx2 v[18:19], v[18:19], off
	v_mov_b32_e32 v17, 0
	v_mov_b32_e32 v20, s15
	v_lshlrev_b64 v[16:17], 2, v[16:17]
	s_waitcnt vmcnt(0)
	v_lshlrev_b64 v[18:19], 8, v[18:19]
	v_add_co_u32_e64 v18, s[0:1], s14, v18
	v_addc_co_u32_e64 v19, s[0:1], v20, v19, s[0:1]
	v_add_co_u32_e64 v16, s[0:1], v18, v16
	v_addc_co_u32_e64 v17, s[0:1], v19, v17, s[0:1]
	global_load_dwordx4 v[42:45], v[16:17], off offset:128
	global_load_dwordx4 v[46:49], v[16:17], off
	global_load_dwordx4 v[50:53], v[16:17], off offset:144
	global_load_dwordx4 v[54:57], v[16:17], off offset:16
	s_waitcnt vmcnt(3)
	v_mul_f32_e32 v16, v42, v1
	s_waitcnt vmcnt(2)
	v_mul_f32_e32 v17, v46, v1
	v_mul_f32_e32 v1, v43, v3
	;; [unrolled: 1-line block ×7, first 2 shown]
	s_waitcnt vmcnt(1)
	v_mul_f32_e32 v7, v50, v9
	s_waitcnt vmcnt(0)
	v_mul_f32_e32 v25, v54, v9
	v_mul_f32_e32 v9, v51, v11
	;; [unrolled: 1-line block ×7, first 2 shown]
	v_fma_f32 v16, v46, v0, -v16
	v_fmac_f32_e32 v17, v42, v0
	v_fma_f32 v18, v47, v2, -v1
	v_fmac_f32_e32 v19, v43, v2
	;; [unrolled: 2-line block ×8, first 2 shown]
	v_pk_mov_b32 v[0:1], v[16:17], v[16:17] op_sel:[0,1]
	v_pk_mov_b32 v[2:3], v[18:19], v[18:19] op_sel:[0,1]
	;; [unrolled: 1-line block ×8, first 2 shown]
.LBB11_8:
	s_or_b64 exec, exec, s[2:3]
	s_mov_b64 s[0:1], 0
                                        ; implicit-def: $vgpr36_vgpr37
                                        ; implicit-def: $vgpr28_vgpr29_vgpr30_vgpr31
                                        ; implicit-def: $vgpr24_vgpr25_vgpr26_vgpr27
                                        ; implicit-def: $vgpr20_vgpr21_vgpr22_vgpr23
                                        ; implicit-def: $vgpr16_vgpr17_vgpr18_vgpr19
	s_and_saveexec_b64 s[2:3], vcc
	s_xor_b64 s[2:3], exec, s[2:3]
	s_cbranch_execnz .LBB11_13
; %bb.9:
	s_andn2_saveexec_b64 s[2:3], s[2:3]
	s_cbranch_execnz .LBB11_84
.LBB11_10:
	s_or_b64 exec, exec, s[2:3]
	s_and_b64 exec, exec, s[0:1]
	s_cbranch_execz .LBB11_12
.LBB11_11:
	v_add_co_u32_e32 v4, vcc, v36, v40
	s_mov_b32 s0, 0x7060302
	v_addc_co_u32_e32 v5, vcc, 0, v37, vcc
	v_perm_b32 v3, v23, v22, s0
	v_perm_b32 v2, v21, v20, s0
	;; [unrolled: 1-line block ×4, first 2 shown]
	global_store_dwordx4 v[4:5], v[0:3], off
	s_nop 0
	v_perm_b32 v3, v31, v30, s0
	v_perm_b32 v2, v29, v28, s0
	;; [unrolled: 1-line block ×4, first 2 shown]
	global_store_dwordx4 v[4:5], v[0:3], off offset:16
.LBB11_12:
	s_endpgm
.LBB11_13:
	s_load_dwordx2 s[0:1], s[4:5], 0x30
                                        ; implicit-def: $vgpr36_vgpr37
                                        ; implicit-def: $vgpr28_vgpr29_vgpr30_vgpr31
                                        ; implicit-def: $vgpr24_vgpr25_vgpr26_vgpr27
                                        ; implicit-def: $vgpr20_vgpr21_vgpr22_vgpr23
	s_waitcnt lgkmcnt(0)
	v_mov_b32_e32 v17, s1
	v_add_co_u32_e32 v16, vcc, s0, v38
	v_addc_co_u32_e32 v17, vcc, v17, v39, vcc
	global_load_dwordx2 v[32:33], v[16:17], off
	s_mov_b64 s[0:1], 0
                                        ; implicit-def: $vgpr16_vgpr17_vgpr18_vgpr19
	s_waitcnt vmcnt(0)
	v_cmp_lt_i64_e32 vcc, -1, v[32:33]
	s_and_saveexec_b64 s[8:9], vcc
	s_cbranch_execz .LBB11_83
; %bb.14:
	s_ashr_i32 s10, s18, 31
	v_or_b32_e32 v17, s10, v33
	v_mov_b32_e32 v16, 0
	v_cmp_ne_u64_e32 vcc, 0, v[16:17]
                                        ; implicit-def: $vgpr34_vgpr35
	s_and_saveexec_b64 s[0:1], vcc
	s_xor_b64 s[12:13], exec, s[0:1]
	s_cbranch_execz .LBB11_16
; %bb.15:
	s_add_u32 s0, s18, s10
	s_mov_b32 s14, s10
	s_mov_b32 s15, s10
	s_addc_u32 s1, s10, s10
	s_xor_b64 s[16:17], s[0:1], s[14:15]
	v_cvt_f32_u32_e32 v16, s16
	v_cvt_f32_u32_e32 v17, s17
	s_sub_u32 s0, 0, s16
	s_subb_u32 s1, 0, s17
	v_madmk_f32 v16, v17, 0x4f800000, v16
	v_rcp_f32_e32 v16, v16
	v_mul_f32_e32 v16, 0x5f7ffffc, v16
	v_mul_f32_e32 v17, 0x2f800000, v16
	v_trunc_f32_e32 v17, v17
	v_madmk_f32 v16, v17, 0xcf800000, v16
	v_cvt_u32_f32_e32 v17, v17
	v_cvt_u32_f32_e32 v16, v16
	v_mul_lo_u32 v18, s0, v17
	v_mul_hi_u32 v20, s0, v16
	v_mul_lo_u32 v19, s1, v16
	v_add_u32_e32 v18, v20, v18
	v_mul_lo_u32 v21, s0, v16
	v_add_u32_e32 v18, v18, v19
	v_mul_lo_u32 v20, v16, v18
	v_mul_hi_u32 v22, v16, v21
	v_mul_hi_u32 v19, v16, v18
	v_add_co_u32_e32 v20, vcc, v22, v20
	v_addc_co_u32_e32 v19, vcc, 0, v19, vcc
	v_mul_hi_u32 v23, v17, v21
	v_mul_lo_u32 v21, v17, v21
	v_add_co_u32_e32 v20, vcc, v20, v21
	v_mul_hi_u32 v22, v17, v18
	v_addc_co_u32_e32 v19, vcc, v19, v23, vcc
	v_addc_co_u32_e32 v20, vcc, 0, v22, vcc
	v_mul_lo_u32 v18, v17, v18
	v_add_co_u32_e32 v18, vcc, v19, v18
	v_addc_co_u32_e32 v19, vcc, 0, v20, vcc
	v_add_co_u32_e32 v16, vcc, v16, v18
	v_addc_co_u32_e32 v17, vcc, v17, v19, vcc
	v_mul_lo_u32 v18, s0, v17
	v_mul_hi_u32 v19, s0, v16
	v_add_u32_e32 v18, v19, v18
	v_mul_lo_u32 v19, s1, v16
	v_add_u32_e32 v18, v18, v19
	v_mul_lo_u32 v20, s0, v16
	v_mul_hi_u32 v21, v17, v20
	v_mul_lo_u32 v22, v17, v20
	v_mul_lo_u32 v24, v16, v18
	v_mul_hi_u32 v20, v16, v20
	v_mul_hi_u32 v23, v16, v18
	v_add_co_u32_e32 v20, vcc, v20, v24
	v_addc_co_u32_e32 v23, vcc, 0, v23, vcc
	v_add_co_u32_e32 v20, vcc, v20, v22
	v_mul_hi_u32 v19, v17, v18
	v_addc_co_u32_e32 v20, vcc, v23, v21, vcc
	v_addc_co_u32_e32 v19, vcc, 0, v19, vcc
	v_mul_lo_u32 v18, v17, v18
	v_add_co_u32_e32 v18, vcc, v20, v18
	v_addc_co_u32_e32 v19, vcc, 0, v19, vcc
	v_add_co_u32_e32 v18, vcc, v16, v18
	v_addc_co_u32_e32 v19, vcc, v17, v19, vcc
	v_ashrrev_i32_e32 v20, 31, v33
	v_add_co_u32_e32 v16, vcc, v32, v20
	v_addc_co_u32_e32 v17, vcc, v33, v20, vcc
	v_xor_b32_e32 v22, v16, v20
	v_xor_b32_e32 v21, v17, v20
	v_mad_u64_u32 v[16:17], s[0:1], v22, v19, 0
	v_mul_hi_u32 v23, v22, v18
	v_add_co_u32_e32 v23, vcc, v23, v16
	v_addc_co_u32_e32 v24, vcc, 0, v17, vcc
	v_mad_u64_u32 v[16:17], s[0:1], v21, v19, 0
	v_mad_u64_u32 v[18:19], s[0:1], v21, v18, 0
	v_add_co_u32_e32 v18, vcc, v23, v18
	v_addc_co_u32_e32 v18, vcc, v24, v19, vcc
	v_addc_co_u32_e32 v17, vcc, 0, v17, vcc
	v_add_co_u32_e32 v18, vcc, v18, v16
	v_addc_co_u32_e32 v19, vcc, 0, v17, vcc
	v_mul_lo_u32 v23, s17, v18
	v_mul_lo_u32 v24, s16, v19
	v_mad_u64_u32 v[16:17], s[0:1], s16, v18, 0
	v_add3_u32 v17, v17, v24, v23
	v_sub_u32_e32 v23, v21, v17
	v_mov_b32_e32 v24, s17
	v_sub_co_u32_e32 v16, vcc, v22, v16
	v_subb_co_u32_e64 v22, s[0:1], v23, v24, vcc
	v_subrev_co_u32_e64 v23, s[0:1], s16, v16
	v_subbrev_co_u32_e64 v22, s[0:1], 0, v22, s[0:1]
	v_cmp_le_u32_e64 s[0:1], s17, v22
	v_cndmask_b32_e64 v24, 0, -1, s[0:1]
	v_cmp_le_u32_e64 s[0:1], s16, v23
	v_cndmask_b32_e64 v23, 0, -1, s[0:1]
	v_cmp_eq_u32_e64 s[0:1], s17, v22
	v_cndmask_b32_e64 v22, v24, v23, s[0:1]
	v_add_co_u32_e64 v23, s[0:1], 2, v18
	v_subb_co_u32_e32 v17, vcc, v21, v17, vcc
	v_addc_co_u32_e64 v24, s[0:1], 0, v19, s[0:1]
	v_cmp_le_u32_e32 vcc, s17, v17
	v_add_co_u32_e64 v25, s[0:1], 1, v18
	v_cndmask_b32_e64 v21, 0, -1, vcc
	v_cmp_le_u32_e32 vcc, s16, v16
	v_addc_co_u32_e64 v26, s[0:1], 0, v19, s[0:1]
	v_cndmask_b32_e64 v16, 0, -1, vcc
	v_cmp_eq_u32_e32 vcc, s17, v17
	v_cmp_ne_u32_e64 s[0:1], 0, v22
	v_cndmask_b32_e32 v16, v21, v16, vcc
	v_cndmask_b32_e64 v22, v26, v24, s[0:1]
	v_cmp_ne_u32_e32 vcc, 0, v16
	v_cndmask_b32_e64 v17, v25, v23, s[0:1]
	v_cndmask_b32_e32 v16, v19, v22, vcc
	v_cndmask_b32_e32 v17, v18, v17, vcc
	v_xor_b32_e32 v19, s14, v20
	v_xor_b32_e32 v18, s15, v20
	;; [unrolled: 1-line block ×4, first 2 shown]
	v_sub_co_u32_e32 v34, vcc, v17, v19
	v_subb_co_u32_e32 v35, vcc, v16, v18, vcc
.LBB11_16:
	s_andn2_saveexec_b64 s[0:1], s[12:13]
	s_cbranch_execz .LBB11_18
; %bb.17:
	v_cvt_f32_u32_e32 v16, s18
	s_sub_i32 s12, 0, s18
	v_mov_b32_e32 v35, 0
	v_rcp_iflag_f32_e32 v16, v16
	v_mul_f32_e32 v16, 0x4f7ffffe, v16
	v_cvt_u32_f32_e32 v16, v16
	v_mul_lo_u32 v17, s12, v16
	v_mul_hi_u32 v17, v16, v17
	v_add_u32_e32 v16, v16, v17
	v_mul_hi_u32 v16, v32, v16
	v_mul_lo_u32 v17, v16, s18
	v_sub_u32_e32 v17, v32, v17
	v_add_u32_e32 v18, 1, v16
	v_subrev_u32_e32 v19, s18, v17
	v_cmp_le_u32_e32 vcc, s18, v17
	v_cndmask_b32_e32 v17, v17, v19, vcc
	v_cndmask_b32_e32 v16, v16, v18, vcc
	v_add_u32_e32 v18, 1, v16
	v_cmp_le_u32_e32 vcc, s18, v17
	v_cndmask_b32_e32 v34, v16, v18, vcc
.LBB11_18:
	s_or_b64 exec, exec, s[0:1]
	s_mov_b32 s0, 0x7f800000
	v_and_b32_e32 v16, 0x7f800000, v0
	v_cmp_ne_u32_e32 vcc, s0, v16
                                        ; implicit-def: $vgpr16
	s_and_saveexec_b64 s[0:1], vcc
	s_xor_b64 s[0:1], exec, s[0:1]
; %bb.19:
	v_bfe_u32 v16, v0, 16, 1
	s_movk_i32 s12, 0x7fff
	v_add3_u32 v16, v0, v16, s12
; %bb.20:
	s_andn2_saveexec_b64 s[0:1], s[0:1]
; %bb.21:
	v_mov_b32_e32 v16, 0
	v_or_b32_e32 v17, 0x10000, v0
	v_cmp_eq_u32_sdwa vcc, v0, v16 src0_sel:WORD_0 src1_sel:DWORD
	v_cndmask_b32_e32 v16, v17, v0, vcc
; %bb.22:
	s_or_b64 exec, exec, s[0:1]
	s_mov_b32 s0, 0x7f800000
	v_and_b32_e32 v0, 0x7f800000, v1
	v_cmp_ne_u32_e32 vcc, s0, v0
	s_and_saveexec_b64 s[0:1], vcc
	s_xor_b64 s[0:1], exec, s[0:1]
; %bb.23:
	v_bfe_u32 v0, v1, 16, 1
	s_movk_i32 s12, 0x7fff
	v_add3_u32 v17, v1, v0, s12
; %bb.24:
	s_andn2_saveexec_b64 s[0:1], s[0:1]
; %bb.25:
	v_mov_b32_e32 v0, 0
	v_or_b32_e32 v17, 0x10000, v1
	v_cmp_eq_u32_sdwa vcc, v1, v0 src0_sel:WORD_0 src1_sel:DWORD
	v_cndmask_b32_e32 v17, v17, v1, vcc
; %bb.26:
	s_or_b64 exec, exec, s[0:1]
	s_mov_b32 s0, 0x7f800000
	v_and_b32_e32 v0, 0x7f800000, v2
	v_cmp_ne_u32_e32 vcc, s0, v0
	;; [unrolled: 18-line block ×4, first 2 shown]
                                        ; implicit-def: $vgpr20
	s_and_saveexec_b64 s[0:1], vcc
	s_xor_b64 s[0:1], exec, s[0:1]
; %bb.35:
	v_bfe_u32 v0, v4, 16, 1
	s_movk_i32 s12, 0x7fff
	v_add3_u32 v20, v4, v0, s12
; %bb.36:
	s_andn2_saveexec_b64 s[0:1], s[0:1]
; %bb.37:
	v_mov_b32_e32 v0, 0
	v_or_b32_e32 v1, 0x10000, v4
	v_cmp_eq_u32_sdwa vcc, v4, v0 src0_sel:WORD_0 src1_sel:DWORD
	v_cndmask_b32_e32 v20, v1, v4, vcc
; %bb.38:
	s_or_b64 exec, exec, s[0:1]
	s_mov_b32 s0, 0x7f800000
	v_and_b32_e32 v0, 0x7f800000, v5
	v_cmp_ne_u32_e32 vcc, s0, v0
	s_and_saveexec_b64 s[0:1], vcc
	s_xor_b64 s[0:1], exec, s[0:1]
; %bb.39:
	v_bfe_u32 v0, v5, 16, 1
	s_movk_i32 s12, 0x7fff
	v_add3_u32 v21, v5, v0, s12
; %bb.40:
	s_andn2_saveexec_b64 s[0:1], s[0:1]
; %bb.41:
	v_mov_b32_e32 v0, 0
	v_or_b32_e32 v1, 0x10000, v5
	v_cmp_eq_u32_sdwa vcc, v5, v0 src0_sel:WORD_0 src1_sel:DWORD
	v_cndmask_b32_e32 v21, v1, v5, vcc
; %bb.42:
	s_or_b64 exec, exec, s[0:1]
	s_mov_b32 s0, 0x7f800000
	v_and_b32_e32 v0, 0x7f800000, v6
	v_cmp_ne_u32_e32 vcc, s0, v0
	s_and_saveexec_b64 s[0:1], vcc
	s_xor_b64 s[0:1], exec, s[0:1]
; %bb.43:
	v_bfe_u32 v0, v6, 16, 1
	s_movk_i32 s12, 0x7fff
	v_add3_u32 v22, v6, v0, s12
; %bb.44:
	s_andn2_saveexec_b64 s[0:1], s[0:1]
; %bb.45:
	v_mov_b32_e32 v0, 0
	v_or_b32_e32 v1, 0x10000, v6
	v_cmp_eq_u32_sdwa vcc, v6, v0 src0_sel:WORD_0 src1_sel:DWORD
	v_cndmask_b32_e32 v22, v1, v6, vcc
; %bb.46:
	s_or_b64 exec, exec, s[0:1]
	s_mov_b32 s0, 0x7f800000
	v_and_b32_e32 v0, 0x7f800000, v7
	v_cmp_ne_u32_e32 vcc, s0, v0
	s_and_saveexec_b64 s[0:1], vcc
	s_xor_b64 s[0:1], exec, s[0:1]
; %bb.47:
	v_bfe_u32 v0, v7, 16, 1
	s_movk_i32 s12, 0x7fff
	v_add3_u32 v23, v7, v0, s12
; %bb.48:
	s_andn2_saveexec_b64 s[0:1], s[0:1]
; %bb.49:
	v_mov_b32_e32 v0, 0
	v_or_b32_e32 v1, 0x10000, v7
	v_cmp_eq_u32_sdwa vcc, v7, v0 src0_sel:WORD_0 src1_sel:DWORD
	v_cndmask_b32_e32 v23, v1, v7, vcc
; %bb.50:
	s_or_b64 exec, exec, s[0:1]
	s_mov_b32 s0, 0x7f800000
	v_and_b32_e32 v0, 0x7f800000, v8
	v_cmp_ne_u32_e32 vcc, s0, v0
                                        ; implicit-def: $vgpr24
	s_and_saveexec_b64 s[0:1], vcc
	s_xor_b64 s[0:1], exec, s[0:1]
; %bb.51:
	v_bfe_u32 v0, v8, 16, 1
	s_movk_i32 s12, 0x7fff
	v_add3_u32 v24, v8, v0, s12
; %bb.52:
	s_andn2_saveexec_b64 s[0:1], s[0:1]
; %bb.53:
	v_mov_b32_e32 v0, 0
	v_or_b32_e32 v1, 0x10000, v8
	v_cmp_eq_u32_sdwa vcc, v8, v0 src0_sel:WORD_0 src1_sel:DWORD
	v_cndmask_b32_e32 v24, v1, v8, vcc
; %bb.54:
	s_or_b64 exec, exec, s[0:1]
	s_mov_b32 s0, 0x7f800000
	v_and_b32_e32 v0, 0x7f800000, v9
	v_cmp_ne_u32_e32 vcc, s0, v0
	s_and_saveexec_b64 s[0:1], vcc
	s_xor_b64 s[0:1], exec, s[0:1]
; %bb.55:
	v_bfe_u32 v0, v9, 16, 1
	s_movk_i32 s12, 0x7fff
	v_add3_u32 v25, v9, v0, s12
; %bb.56:
	s_andn2_saveexec_b64 s[0:1], s[0:1]
; %bb.57:
	v_mov_b32_e32 v0, 0
	v_or_b32_e32 v1, 0x10000, v9
	v_cmp_eq_u32_sdwa vcc, v9, v0 src0_sel:WORD_0 src1_sel:DWORD
	v_cndmask_b32_e32 v25, v1, v9, vcc
; %bb.58:
	s_or_b64 exec, exec, s[0:1]
	s_mov_b32 s0, 0x7f800000
	v_and_b32_e32 v0, 0x7f800000, v10
	v_cmp_ne_u32_e32 vcc, s0, v0
	s_and_saveexec_b64 s[0:1], vcc
	s_xor_b64 s[0:1], exec, s[0:1]
; %bb.59:
	v_bfe_u32 v0, v10, 16, 1
	s_movk_i32 s12, 0x7fff
	v_add3_u32 v26, v10, v0, s12
; %bb.60:
	s_andn2_saveexec_b64 s[0:1], s[0:1]
; %bb.61:
	v_mov_b32_e32 v0, 0
	v_or_b32_e32 v1, 0x10000, v10
	v_cmp_eq_u32_sdwa vcc, v10, v0 src0_sel:WORD_0 src1_sel:DWORD
	v_cndmask_b32_e32 v26, v1, v10, vcc
; %bb.62:
	s_or_b64 exec, exec, s[0:1]
	s_mov_b32 s0, 0x7f800000
	v_and_b32_e32 v0, 0x7f800000, v11
	v_cmp_ne_u32_e32 vcc, s0, v0
	s_and_saveexec_b64 s[0:1], vcc
	s_xor_b64 s[0:1], exec, s[0:1]
; %bb.63:
	v_bfe_u32 v0, v11, 16, 1
	s_movk_i32 s12, 0x7fff
	v_add3_u32 v27, v11, v0, s12
; %bb.64:
	s_andn2_saveexec_b64 s[0:1], s[0:1]
; %bb.65:
	v_mov_b32_e32 v0, 0
	v_or_b32_e32 v1, 0x10000, v11
	v_cmp_eq_u32_sdwa vcc, v11, v0 src0_sel:WORD_0 src1_sel:DWORD
	v_cndmask_b32_e32 v27, v1, v11, vcc
; %bb.66:
	s_or_b64 exec, exec, s[0:1]
	s_mov_b32 s0, 0x7f800000
	v_and_b32_e32 v0, 0x7f800000, v12
	v_cmp_ne_u32_e32 vcc, s0, v0
                                        ; implicit-def: $vgpr28
	s_and_saveexec_b64 s[0:1], vcc
	s_xor_b64 s[0:1], exec, s[0:1]
; %bb.67:
	v_bfe_u32 v0, v12, 16, 1
	s_movk_i32 s12, 0x7fff
	v_add3_u32 v28, v12, v0, s12
; %bb.68:
	s_andn2_saveexec_b64 s[0:1], s[0:1]
; %bb.69:
	v_mov_b32_e32 v0, 0
	v_or_b32_e32 v1, 0x10000, v12
	v_cmp_eq_u32_sdwa vcc, v12, v0 src0_sel:WORD_0 src1_sel:DWORD
	v_cndmask_b32_e32 v28, v1, v12, vcc
; %bb.70:
	s_or_b64 exec, exec, s[0:1]
	s_mov_b32 s0, 0x7f800000
	v_and_b32_e32 v0, 0x7f800000, v13
	v_cmp_ne_u32_e32 vcc, s0, v0
	s_and_saveexec_b64 s[0:1], vcc
	s_xor_b64 s[0:1], exec, s[0:1]
; %bb.71:
	v_bfe_u32 v0, v13, 16, 1
	s_movk_i32 s12, 0x7fff
	v_add3_u32 v29, v13, v0, s12
; %bb.72:
	s_andn2_saveexec_b64 s[0:1], s[0:1]
; %bb.73:
	v_mov_b32_e32 v0, 0
	v_or_b32_e32 v1, 0x10000, v13
	v_cmp_eq_u32_sdwa vcc, v13, v0 src0_sel:WORD_0 src1_sel:DWORD
	v_cndmask_b32_e32 v29, v1, v13, vcc
; %bb.74:
	s_or_b64 exec, exec, s[0:1]
	s_mov_b32 s0, 0x7f800000
	v_and_b32_e32 v0, 0x7f800000, v14
	v_cmp_ne_u32_e32 vcc, s0, v0
	s_and_saveexec_b64 s[0:1], vcc
	s_xor_b64 s[0:1], exec, s[0:1]
; %bb.75:
	v_bfe_u32 v0, v14, 16, 1
	s_movk_i32 s12, 0x7fff
	v_add3_u32 v30, v14, v0, s12
; %bb.76:
	s_andn2_saveexec_b64 s[0:1], s[0:1]
; %bb.77:
	v_mov_b32_e32 v0, 0
	v_or_b32_e32 v1, 0x10000, v14
	v_cmp_eq_u32_sdwa vcc, v14, v0 src0_sel:WORD_0 src1_sel:DWORD
	v_cndmask_b32_e32 v30, v1, v14, vcc
; %bb.78:
	s_or_b64 exec, exec, s[0:1]
	s_load_dwordx2 s[12:13], s[4:5], 0x28
	s_mov_b32 s0, 0x7f800000
	v_and_b32_e32 v0, 0x7f800000, v15
	v_cmp_ne_u32_e32 vcc, s0, v0
	s_and_saveexec_b64 s[0:1], vcc
	s_xor_b64 s[0:1], exec, s[0:1]
; %bb.79:
	v_bfe_u32 v0, v15, 16, 1
	s_movk_i32 s14, 0x7fff
	v_add3_u32 v31, v15, v0, s14
                                        ; implicit-def: $vgpr0_vgpr1_vgpr2_vgpr3_vgpr4_vgpr5_vgpr6_vgpr7_vgpr8_vgpr9_vgpr10_vgpr11_vgpr12_vgpr13_vgpr14_vgpr15
; %bb.80:
	s_andn2_saveexec_b64 s[0:1], s[0:1]
; %bb.81:
	v_mov_b32_e32 v0, 0
	v_or_b32_e32 v1, 0x10000, v15
	v_cmp_eq_u32_sdwa vcc, v15, v0 src0_sel:WORD_0 src1_sel:DWORD
	v_cndmask_b32_e32 v31, v1, v15, vcc
; %bb.82:
	s_or_b64 exec, exec, s[0:1]
	s_load_dwordx4 s[20:23], s[4:5], 0x70
	s_waitcnt lgkmcnt(0)
	v_pk_mov_b32 v[0:1], s[12:13], s[12:13] op_sel:[0,1]
	v_mul_lo_u32 v4, v35, s18
	v_mul_lo_u32 v5, v34, s10
	s_mov_b64 s[0:1], exec
	v_mad_u64_u32 v[0:1], s[4:5], v34, s20, v[0:1]
	v_mul_lo_u32 v2, v34, s21
	v_mul_lo_u32 v3, v35, s20
	v_add3_u32 v1, v3, v1, v2
	v_mad_u64_u32 v[2:3], s[4:5], v34, s18, 0
	v_add3_u32 v3, v3, v5, v4
	v_sub_co_u32_e32 v2, vcc, v32, v2
	v_subb_co_u32_e32 v3, vcc, v33, v3, vcc
	v_mad_u64_u32 v[36:37], s[4:5], v2, s22, v[0:1]
	v_mul_lo_u32 v0, v2, s23
	v_mul_lo_u32 v1, v3, s22
	v_add3_u32 v37, v1, v37, v0
.LBB11_83:
	s_or_b64 exec, exec, s[8:9]
	s_and_b64 s[0:1], s[0:1], exec
                                        ; implicit-def: $vgpr34
                                        ; implicit-def: $vgpr32_vgpr33
                                        ; implicit-def: $vgpr0_vgpr1_vgpr2_vgpr3_vgpr4_vgpr5_vgpr6_vgpr7_vgpr8_vgpr9_vgpr10_vgpr11_vgpr12_vgpr13_vgpr14_vgpr15
	s_andn2_saveexec_b64 s[2:3], s[2:3]
	s_cbranch_execz .LBB11_10
.LBB11_84:
	s_mov_b32 s4, 0x7f800000
	v_and_b32_e32 v16, 0x7f800000, v0
	v_cmp_ne_u32_e32 vcc, s4, v16
                                        ; implicit-def: $vgpr16
	s_and_saveexec_b64 s[4:5], vcc
	s_xor_b64 s[4:5], exec, s[4:5]
; %bb.85:
	v_bfe_u32 v16, v0, 16, 1
	s_movk_i32 s8, 0x7fff
	v_add3_u32 v16, v0, v16, s8
; %bb.86:
	s_andn2_saveexec_b64 s[4:5], s[4:5]
; %bb.87:
	v_mov_b32_e32 v16, 0
	v_or_b32_e32 v17, 0x10000, v0
	v_cmp_eq_u32_sdwa vcc, v0, v16 src0_sel:WORD_0 src1_sel:DWORD
	v_cndmask_b32_e32 v16, v17, v0, vcc
; %bb.88:
	s_or_b64 exec, exec, s[4:5]
	s_mov_b32 s4, 0x7f800000
	v_and_b32_e32 v0, 0x7f800000, v1
	v_cmp_ne_u32_e32 vcc, s4, v0
	s_and_saveexec_b64 s[4:5], vcc
	s_xor_b64 s[4:5], exec, s[4:5]
; %bb.89:
	v_bfe_u32 v0, v1, 16, 1
	s_movk_i32 s8, 0x7fff
	v_add3_u32 v17, v1, v0, s8
; %bb.90:
	s_andn2_saveexec_b64 s[4:5], s[4:5]
; %bb.91:
	v_mov_b32_e32 v0, 0
	v_or_b32_e32 v17, 0x10000, v1
	v_cmp_eq_u32_sdwa vcc, v1, v0 src0_sel:WORD_0 src1_sel:DWORD
	v_cndmask_b32_e32 v17, v17, v1, vcc
; %bb.92:
	s_or_b64 exec, exec, s[4:5]
	s_mov_b32 s4, 0x7f800000
	v_and_b32_e32 v0, 0x7f800000, v2
	v_cmp_ne_u32_e32 vcc, s4, v0
	;; [unrolled: 18-line block ×4, first 2 shown]
                                        ; implicit-def: $vgpr20
	s_and_saveexec_b64 s[4:5], vcc
	s_xor_b64 s[4:5], exec, s[4:5]
; %bb.101:
	v_bfe_u32 v0, v4, 16, 1
	s_movk_i32 s8, 0x7fff
	v_add3_u32 v20, v4, v0, s8
; %bb.102:
	s_andn2_saveexec_b64 s[4:5], s[4:5]
; %bb.103:
	v_mov_b32_e32 v0, 0
	v_or_b32_e32 v1, 0x10000, v4
	v_cmp_eq_u32_sdwa vcc, v4, v0 src0_sel:WORD_0 src1_sel:DWORD
	v_cndmask_b32_e32 v20, v1, v4, vcc
; %bb.104:
	s_or_b64 exec, exec, s[4:5]
	s_mov_b32 s4, 0x7f800000
	v_and_b32_e32 v0, 0x7f800000, v5
	v_cmp_ne_u32_e32 vcc, s4, v0
	s_and_saveexec_b64 s[4:5], vcc
	s_xor_b64 s[4:5], exec, s[4:5]
; %bb.105:
	v_bfe_u32 v0, v5, 16, 1
	s_movk_i32 s8, 0x7fff
	v_add3_u32 v21, v5, v0, s8
; %bb.106:
	s_andn2_saveexec_b64 s[4:5], s[4:5]
; %bb.107:
	v_mov_b32_e32 v0, 0
	v_or_b32_e32 v1, 0x10000, v5
	v_cmp_eq_u32_sdwa vcc, v5, v0 src0_sel:WORD_0 src1_sel:DWORD
	v_cndmask_b32_e32 v21, v1, v5, vcc
; %bb.108:
	s_or_b64 exec, exec, s[4:5]
	s_mov_b32 s4, 0x7f800000
	v_and_b32_e32 v0, 0x7f800000, v6
	v_cmp_ne_u32_e32 vcc, s4, v0
	;; [unrolled: 18-line block ×4, first 2 shown]
                                        ; implicit-def: $vgpr24
	s_and_saveexec_b64 s[4:5], vcc
	s_xor_b64 s[4:5], exec, s[4:5]
; %bb.117:
	v_bfe_u32 v0, v8, 16, 1
	s_movk_i32 s8, 0x7fff
	v_add3_u32 v24, v8, v0, s8
; %bb.118:
	s_andn2_saveexec_b64 s[4:5], s[4:5]
; %bb.119:
	v_mov_b32_e32 v0, 0
	v_or_b32_e32 v1, 0x10000, v8
	v_cmp_eq_u32_sdwa vcc, v8, v0 src0_sel:WORD_0 src1_sel:DWORD
	v_cndmask_b32_e32 v24, v1, v8, vcc
; %bb.120:
	s_or_b64 exec, exec, s[4:5]
	s_mov_b32 s4, 0x7f800000
	v_and_b32_e32 v0, 0x7f800000, v9
	v_cmp_ne_u32_e32 vcc, s4, v0
	s_and_saveexec_b64 s[4:5], vcc
	s_xor_b64 s[4:5], exec, s[4:5]
; %bb.121:
	v_bfe_u32 v0, v9, 16, 1
	s_movk_i32 s8, 0x7fff
	v_add3_u32 v25, v9, v0, s8
; %bb.122:
	s_andn2_saveexec_b64 s[4:5], s[4:5]
; %bb.123:
	v_mov_b32_e32 v0, 0
	v_or_b32_e32 v1, 0x10000, v9
	v_cmp_eq_u32_sdwa vcc, v9, v0 src0_sel:WORD_0 src1_sel:DWORD
	v_cndmask_b32_e32 v25, v1, v9, vcc
; %bb.124:
	s_or_b64 exec, exec, s[4:5]
	s_mov_b32 s4, 0x7f800000
	v_and_b32_e32 v0, 0x7f800000, v10
	v_cmp_ne_u32_e32 vcc, s4, v0
	;; [unrolled: 18-line block ×4, first 2 shown]
                                        ; implicit-def: $vgpr28
	s_and_saveexec_b64 s[4:5], vcc
	s_xor_b64 s[4:5], exec, s[4:5]
; %bb.133:
	v_bfe_u32 v0, v12, 16, 1
	s_movk_i32 s8, 0x7fff
	v_add3_u32 v28, v12, v0, s8
; %bb.134:
	s_andn2_saveexec_b64 s[4:5], s[4:5]
; %bb.135:
	v_mov_b32_e32 v0, 0
	v_or_b32_e32 v1, 0x10000, v12
	v_cmp_eq_u32_sdwa vcc, v12, v0 src0_sel:WORD_0 src1_sel:DWORD
	v_cndmask_b32_e32 v28, v1, v12, vcc
; %bb.136:
	s_or_b64 exec, exec, s[4:5]
	s_mov_b32 s4, 0x7f800000
	v_and_b32_e32 v0, 0x7f800000, v13
	v_cmp_ne_u32_e32 vcc, s4, v0
	s_and_saveexec_b64 s[4:5], vcc
	s_xor_b64 s[4:5], exec, s[4:5]
; %bb.137:
	v_bfe_u32 v0, v13, 16, 1
	s_movk_i32 s8, 0x7fff
	v_add3_u32 v29, v13, v0, s8
; %bb.138:
	s_andn2_saveexec_b64 s[4:5], s[4:5]
; %bb.139:
	v_mov_b32_e32 v0, 0
	v_or_b32_e32 v1, 0x10000, v13
	v_cmp_eq_u32_sdwa vcc, v13, v0 src0_sel:WORD_0 src1_sel:DWORD
	v_cndmask_b32_e32 v29, v1, v13, vcc
; %bb.140:
	s_or_b64 exec, exec, s[4:5]
	s_mov_b32 s4, 0x7f800000
	v_and_b32_e32 v0, 0x7f800000, v14
	v_cmp_ne_u32_e32 vcc, s4, v0
	;; [unrolled: 18-line block ×3, first 2 shown]
	s_and_saveexec_b64 s[4:5], vcc
	s_xor_b64 s[4:5], exec, s[4:5]
; %bb.145:
	v_bfe_u32 v0, v15, 16, 1
	s_movk_i32 s8, 0x7fff
	v_add3_u32 v31, v15, v0, s8
                                        ; implicit-def: $vgpr0_vgpr1_vgpr2_vgpr3_vgpr4_vgpr5_vgpr6_vgpr7_vgpr8_vgpr9_vgpr10_vgpr11_vgpr12_vgpr13_vgpr14_vgpr15
; %bb.146:
	s_andn2_saveexec_b64 s[4:5], s[4:5]
; %bb.147:
	v_mov_b32_e32 v0, 0
	v_or_b32_e32 v1, 0x10000, v15
	v_cmp_eq_u32_sdwa vcc, v15, v0 src0_sel:WORD_0 src1_sel:DWORD
	v_cndmask_b32_e32 v31, v1, v15, vcc
; %bb.148:
	s_or_b64 exec, exec, s[4:5]
	v_mad_i64_i32 v[0:1], s[4:5], v32, s11, v[34:35]
	v_lshlrev_b64 v[0:1], 10, v[0:1]
	v_mov_b32_e32 v2, s7
	v_add_co_u32_e32 v36, vcc, s6, v0
	v_addc_co_u32_e32 v37, vcc, v2, v1, vcc
	s_or_b64 s[0:1], s[0:1], exec
	s_or_b64 exec, exec, s[2:3]
	s_and_b64 exec, exec, s[0:1]
	s_cbranch_execnz .LBB11_11
	s_branch .LBB11_12
	.section	.rodata,"a",@progbits
	.p2align	6, 0x0
	.amdhsa_kernel _ZN4vllm21deepseek_v4_fused_ops30fusedDeepseekV4FullCacheKernelIN3c108BFloat16ELb0ELb0EEEvPT_PhllPKS4_S6_PKlSA_PKfSC_SC_fiiiill
		.amdhsa_group_segment_fixed_size 0
		.amdhsa_private_segment_fixed_size 0
		.amdhsa_kernarg_size 384
		.amdhsa_user_sgpr_count 6
		.amdhsa_user_sgpr_private_segment_buffer 1
		.amdhsa_user_sgpr_dispatch_ptr 0
		.amdhsa_user_sgpr_queue_ptr 0
		.amdhsa_user_sgpr_kernarg_segment_ptr 1
		.amdhsa_user_sgpr_dispatch_id 0
		.amdhsa_user_sgpr_flat_scratch_init 0
		.amdhsa_user_sgpr_kernarg_preload_length 0
		.amdhsa_user_sgpr_kernarg_preload_offset 0
		.amdhsa_user_sgpr_private_segment_size 0
		.amdhsa_uses_dynamic_stack 0
		.amdhsa_system_sgpr_private_segment_wavefront_offset 0
		.amdhsa_system_sgpr_workgroup_id_x 1
		.amdhsa_system_sgpr_workgroup_id_y 0
		.amdhsa_system_sgpr_workgroup_id_z 0
		.amdhsa_system_sgpr_workgroup_info 0
		.amdhsa_system_vgpr_workitem_id 0
		.amdhsa_next_free_vgpr 58
		.amdhsa_next_free_sgpr 24
		.amdhsa_accum_offset 60
		.amdhsa_reserve_vcc 1
		.amdhsa_reserve_flat_scratch 0
		.amdhsa_float_round_mode_32 0
		.amdhsa_float_round_mode_16_64 0
		.amdhsa_float_denorm_mode_32 3
		.amdhsa_float_denorm_mode_16_64 3
		.amdhsa_dx10_clamp 1
		.amdhsa_ieee_mode 1
		.amdhsa_fp16_overflow 0
		.amdhsa_tg_split 0
		.amdhsa_exception_fp_ieee_invalid_op 0
		.amdhsa_exception_fp_denorm_src 0
		.amdhsa_exception_fp_ieee_div_zero 0
		.amdhsa_exception_fp_ieee_overflow 0
		.amdhsa_exception_fp_ieee_underflow 0
		.amdhsa_exception_fp_ieee_inexact 0
		.amdhsa_exception_int_div_zero 0
	.end_amdhsa_kernel
	.section	.text._ZN4vllm21deepseek_v4_fused_ops30fusedDeepseekV4FullCacheKernelIN3c108BFloat16ELb0ELb0EEEvPT_PhllPKS4_S6_PKlSA_PKfSC_SC_fiiiill,"axG",@progbits,_ZN4vllm21deepseek_v4_fused_ops30fusedDeepseekV4FullCacheKernelIN3c108BFloat16ELb0ELb0EEEvPT_PhllPKS4_S6_PKlSA_PKfSC_SC_fiiiill,comdat
.Lfunc_end11:
	.size	_ZN4vllm21deepseek_v4_fused_ops30fusedDeepseekV4FullCacheKernelIN3c108BFloat16ELb0ELb0EEEvPT_PhllPKS4_S6_PKlSA_PKfSC_SC_fiiiill, .Lfunc_end11-_ZN4vllm21deepseek_v4_fused_ops30fusedDeepseekV4FullCacheKernelIN3c108BFloat16ELb0ELb0EEEvPT_PhllPKS4_S6_PKlSA_PKfSC_SC_fiiiill
                                        ; -- End function
	.section	.AMDGPU.csdata,"",@progbits
; Kernel info:
; codeLenInByte = 5156
; NumSgprs: 28
; NumVgprs: 58
; NumAgprs: 0
; TotalNumVgprs: 58
; ScratchSize: 0
; MemoryBound: 0
; FloatMode: 240
; IeeeMode: 1
; LDSByteSize: 0 bytes/workgroup (compile time only)
; SGPRBlocks: 3
; VGPRBlocks: 7
; NumSGPRsForWavesPerEU: 28
; NumVGPRsForWavesPerEU: 58
; AccumOffset: 60
; Occupancy: 8
; WaveLimiterHint : 1
; COMPUTE_PGM_RSRC2:SCRATCH_EN: 0
; COMPUTE_PGM_RSRC2:USER_SGPR: 6
; COMPUTE_PGM_RSRC2:TRAP_HANDLER: 0
; COMPUTE_PGM_RSRC2:TGID_X_EN: 1
; COMPUTE_PGM_RSRC2:TGID_Y_EN: 0
; COMPUTE_PGM_RSRC2:TGID_Z_EN: 0
; COMPUTE_PGM_RSRC2:TIDIG_COMP_CNT: 0
; COMPUTE_PGM_RSRC3_GFX90A:ACCUM_OFFSET: 14
; COMPUTE_PGM_RSRC3_GFX90A:TG_SPLIT: 0
	.section	.text._ZN4vllm21deepseek_v4_fused_ops30fusedDeepseekV4FullCacheKernelIN3c104HalfELb1ELb1EEEvPT_PhllPKS4_S6_PKlSA_PKfSC_SC_fiiiill,"axG",@progbits,_ZN4vllm21deepseek_v4_fused_ops30fusedDeepseekV4FullCacheKernelIN3c104HalfELb1ELb1EEEvPT_PhllPKS4_S6_PKlSA_PKfSC_SC_fiiiill,comdat
	.protected	_ZN4vllm21deepseek_v4_fused_ops30fusedDeepseekV4FullCacheKernelIN3c104HalfELb1ELb1EEEvPT_PhllPKS4_S6_PKlSA_PKfSC_SC_fiiiill ; -- Begin function _ZN4vllm21deepseek_v4_fused_ops30fusedDeepseekV4FullCacheKernelIN3c104HalfELb1ELb1EEEvPT_PhllPKS4_S6_PKlSA_PKfSC_SC_fiiiill
	.globl	_ZN4vllm21deepseek_v4_fused_ops30fusedDeepseekV4FullCacheKernelIN3c104HalfELb1ELb1EEEvPT_PhllPKS4_S6_PKlSA_PKfSC_SC_fiiiill
	.p2align	8
	.type	_ZN4vllm21deepseek_v4_fused_ops30fusedDeepseekV4FullCacheKernelIN3c104HalfELb1ELb1EEEvPT_PhllPKS4_S6_PKlSA_PKfSC_SC_fiiiill,@function
_ZN4vllm21deepseek_v4_fused_ops30fusedDeepseekV4FullCacheKernelIN3c104HalfELb1ELb1EEEvPT_PhllPKS4_S6_PKlSA_PKfSC_SC_fiiiill: ; @_ZN4vllm21deepseek_v4_fused_ops30fusedDeepseekV4FullCacheKernelIN3c104HalfELb1ELb1EEEvPT_PhllPKS4_S6_PKlSA_PKfSC_SC_fiiiill
; %bb.0:
	s_load_dwordx4 s[8:11], s[4:5], 0x58
	s_load_dword s1, s[4:5], 0x8c
	v_lshrrev_b32_e32 v2, 5, v0
	s_waitcnt lgkmcnt(0)
	s_add_i32 s0, s11, 1
	s_abs_i32 s2, s0
	v_cvt_f32_u32_e32 v1, s2
	s_bfe_u32 s1, s1, 0xb0005
	s_mul_i32 s6, s6, s1
	s_sub_i32 s1, 0, s2
	v_rcp_iflag_f32_e32 v3, v1
	v_add_u32_e32 v1, s6, v2
	v_sub_u32_e32 v4, 0, v1
	v_max_i32_e32 v4, v1, v4
	v_mul_f32_e32 v3, 0x4f7ffffe, v3
	v_cvt_u32_f32_e32 v3, v3
	v_xor_b32_e32 v2, s0, v1
	v_ashrrev_i32_e32 v2, 31, v2
	v_mul_lo_u32 v5, s1, v3
	v_mul_hi_u32 v5, v3, v5
	v_add_u32_e32 v3, v3, v5
	v_mul_hi_u32 v3, v4, v3
	v_mul_lo_u32 v5, v3, s2
	v_sub_u32_e32 v4, v4, v5
	v_add_u32_e32 v6, 1, v3
	v_cmp_le_u32_e32 vcc, s2, v4
	v_subrev_u32_e32 v5, s2, v4
	v_cndmask_b32_e32 v3, v3, v6, vcc
	v_cndmask_b32_e32 v4, v4, v5, vcc
	v_add_u32_e32 v5, 1, v3
	v_cmp_le_u32_e32 vcc, s2, v4
	v_cndmask_b32_e32 v3, v3, v5, vcc
	v_xor_b32_e32 v3, v3, v2
	v_sub_u32_e32 v32, v3, v2
	v_cmp_gt_i32_e32 vcc, s9, v32
	s_and_saveexec_b64 s[2:3], vcc
	s_cbranch_execz .LBB12_12
; %bb.1:
	s_load_dword s16, s[4:5], 0x68
	v_mul_lo_u32 v2, v32, s0
	v_sub_u32_e32 v34, v1, v2
	v_cmp_ne_u32_e64 s[0:1], s11, v34
	v_cmp_gt_i32_e64 s[2:3], s10, v32
	v_cmp_eq_u32_e32 vcc, s11, v34
	s_or_b64 s[2:3], s[2:3], s[0:1]
	s_and_b64 exec, exec, s[2:3]
	s_cbranch_execz .LBB12_12
; %bb.2:
	s_load_dwordx2 s[2:3], s[4:5], 0x20
	v_ashrrev_i32_e32 v33, 31, v32
	v_ashrrev_i32_e32 v35, 31, v34
	v_pk_mov_b32 v[4:5], v[32:33], v[32:33] op_sel:[0,1]
	s_waitcnt lgkmcnt(0)
	v_pk_mov_b32 v[2:3], s[2:3], s[2:3] op_sel:[0,1]
	s_and_saveexec_b64 s[2:3], s[0:1]
	s_cbranch_execz .LBB12_4
; %bb.3:
	s_load_dwordx2 s[6:7], s[4:5], 0x0
	v_mad_i64_i32 v[4:5], s[10:11], v32, s11, v[34:35]
	s_waitcnt lgkmcnt(0)
	v_pk_mov_b32 v[2:3], s[6:7], s[6:7] op_sel:[0,1]
.LBB12_4:
	s_or_b64 exec, exec, s[2:3]
	v_lshlrev_b32_e32 v0, 4, v0
	v_and_b32_e32 v38, 0x1f0, v0
	v_lshlrev_b64 v[0:1], 10, v[4:5]
	v_add_co_u32_e64 v0, s[2:3], v2, v0
	v_addc_co_u32_e64 v1, s[2:3], v3, v1, s[2:3]
	v_lshlrev_b32_e32 v2, 1, v38
	v_add_co_u32_e64 v0, s[2:3], v0, v2
	v_addc_co_u32_e64 v1, s[2:3], 0, v1, s[2:3]
	global_load_dwordx4 v[4:7], v[0:1], off
	global_load_dwordx4 v[12:15], v[0:1], off offset:16
	s_waitcnt vmcnt(1)
	v_cvt_f32_f16_e32 v0, v4
	v_cvt_f32_f16_sdwa v1, v4 dst_sel:DWORD dst_unused:UNUSED_PAD src0_sel:WORD_1
	v_cvt_f32_f16_e32 v2, v5
	v_cvt_f32_f16_sdwa v3, v5 dst_sel:DWORD dst_unused:UNUSED_PAD src0_sel:WORD_1
	;; [unrolled: 2-line block ×4, first 2 shown]
	s_waitcnt vmcnt(0)
	v_cvt_f32_f16_e32 v8, v12
	v_cvt_f32_f16_sdwa v9, v12 dst_sel:DWORD dst_unused:UNUSED_PAD src0_sel:WORD_1
	v_cvt_f32_f16_e32 v10, v13
	v_cvt_f32_f16_sdwa v11, v13 dst_sel:DWORD dst_unused:UNUSED_PAD src0_sel:WORD_1
	;; [unrolled: 2-line block ×4, first 2 shown]
	s_and_saveexec_b64 s[2:3], s[0:1]
	s_cbranch_execz .LBB12_6
; %bb.5:
	v_pk_mul_f32 v[16:17], v[0:1], v[0:1]
	v_pk_mul_f32 v[18:19], v[2:3], v[2:3]
	v_add_f32_e32 v16, v16, v17
	v_add_f32_e32 v16, v16, v18
	v_pk_mul_f32 v[20:21], v[4:5], v[4:5]
	v_add_f32_e32 v16, v16, v19
	v_add_f32_e32 v16, v16, v20
	;; [unrolled: 3-line block ×4, first 2 shown]
	v_pk_mul_f32 v[26:27], v[10:11], v[10:11]
	v_add_f32_e32 v16, v16, v25
	v_mbcnt_lo_u32_b32 v17, -1, 0
	v_add_f32_e32 v16, v16, v26
	v_mbcnt_hi_u32_b32 v17, -1, v17
	v_pk_mul_f32 v[28:29], v[12:13], v[12:13]
	v_add_f32_e32 v16, v16, v27
	v_and_b32_e32 v18, 0x60, v17
	v_add_f32_e32 v16, v16, v28
	v_add_u32_e32 v18, 32, v18
	v_xor_b32_e32 v19, 16, v17
	v_pk_mul_f32 v[30:31], v[14:15], v[14:15]
	v_add_f32_e32 v16, v16, v29
	v_cmp_lt_i32_e64 s[0:1], v19, v18
	v_add_f32_e32 v16, v16, v30
	v_cndmask_b32_e64 v19, v17, v19, s[0:1]
	v_add_f32_e32 v16, v16, v31
	v_lshlrev_b32_e32 v19, 2, v19
	ds_bpermute_b32 v19, v19, v16
	s_waitcnt lgkmcnt(0)
	v_add_f32_e32 v16, v16, v19
	v_xor_b32_e32 v19, 8, v17
	v_cmp_lt_i32_e64 s[0:1], v19, v18
	v_cndmask_b32_e64 v19, v17, v19, s[0:1]
	v_lshlrev_b32_e32 v19, 2, v19
	ds_bpermute_b32 v19, v19, v16
	s_waitcnt lgkmcnt(0)
	v_add_f32_e32 v16, v16, v19
	v_xor_b32_e32 v19, 4, v17
	v_cmp_lt_i32_e64 s[0:1], v19, v18
	v_cndmask_b32_e64 v19, v17, v19, s[0:1]
	;; [unrolled: 7-line block ×4, first 2 shown]
	v_lshlrev_b32_e32 v17, 2, v17
	ds_bpermute_b32 v17, v17, v16
	s_mov_b32 s0, 0x800000
	s_waitcnt lgkmcnt(0)
	v_add_f32_e32 v16, v16, v17
	v_mov_b32_e32 v17, s8
	v_fmac_f32_e32 v17, 0x3b000000, v16
	v_mul_f32_e32 v16, 0x4b800000, v17
	v_cmp_gt_f32_e64 s[0:1], s0, v17
	v_cndmask_b32_e64 v16, v17, v16, s[0:1]
	v_rsq_f32_e32 v16, v16
	v_mul_f32_e32 v17, 0x45800000, v16
	v_cndmask_b32_e64 v16, v16, v17, s[0:1]
	v_pk_mul_f32 v[14:15], v[16:17], v[14:15] op_sel_hi:[0,1]
	v_pk_mul_f32 v[12:13], v[16:17], v[12:13] op_sel_hi:[0,1]
	v_pk_mul_f32 v[10:11], v[16:17], v[10:11] op_sel_hi:[0,1]
	v_pk_mul_f32 v[8:9], v[16:17], v[8:9] op_sel_hi:[0,1]
	v_pk_mul_f32 v[6:7], v[16:17], v[6:7] op_sel_hi:[0,1]
	v_pk_mul_f32 v[4:5], v[16:17], v[4:5] op_sel_hi:[0,1]
	v_pk_mul_f32 v[2:3], v[16:17], v[2:3] op_sel_hi:[0,1]
	v_pk_mul_f32 v[0:1], v[16:17], v[0:1] op_sel_hi:[0,1]
.LBB12_6:
	s_or_b64 exec, exec, s[2:3]
	s_movk_i32 s0, 0x1bf
	v_cmp_lt_u32_e64 s[0:1], s0, v38
	v_lshlrev_b64 v[36:37], 3, v[32:33]
	s_and_saveexec_b64 s[2:3], s[0:1]
	s_cbranch_execz .LBB12_8
; %bb.7:
	s_load_dwordx4 s[8:11], s[4:5], 0x38
	v_add_u32_e32 v18, 0xfffffe40, v38
	v_mov_b32_e32 v19, 0
	v_lshrrev_b32_e32 v18, 1, v18
	v_lshlrev_b64 v[18:19], 2, v[18:19]
	s_waitcnt lgkmcnt(0)
	v_mov_b32_e32 v17, s9
	v_add_co_u32_e64 v16, s[0:1], s8, v36
	v_addc_co_u32_e64 v17, s[0:1], v17, v37, s[0:1]
	global_load_dwordx2 v[16:17], v[16:17], off
	v_mov_b32_e32 v20, s11
	s_waitcnt vmcnt(0)
	v_lshlrev_b64 v[16:17], 8, v[16:17]
	v_add_co_u32_e64 v16, s[0:1], s10, v16
	v_addc_co_u32_e64 v17, s[0:1], v20, v17, s[0:1]
	v_add_co_u32_e64 v16, s[0:1], v16, v18
	v_addc_co_u32_e64 v17, s[0:1], v17, v19, s[0:1]
	global_load_dwordx4 v[40:43], v[16:17], off offset:128
	global_load_dwordx4 v[44:47], v[16:17], off
	global_load_dwordx4 v[48:51], v[16:17], off offset:144
	global_load_dwordx4 v[52:55], v[16:17], off offset:16
	s_waitcnt vmcnt(3)
	v_mul_f32_e32 v16, v40, v1
	s_waitcnt vmcnt(2)
	v_mul_f32_e32 v17, v44, v1
	v_mul_f32_e32 v1, v41, v3
	v_mul_f32_e32 v19, v45, v3
	v_mul_f32_e32 v3, v42, v5
	v_mul_f32_e32 v21, v46, v5
	v_mul_f32_e32 v5, v43, v7
	v_mul_f32_e32 v23, v47, v7
	s_waitcnt vmcnt(1)
	v_mul_f32_e32 v7, v48, v9
	s_waitcnt vmcnt(0)
	v_mul_f32_e32 v25, v52, v9
	v_mul_f32_e32 v9, v49, v11
	;; [unrolled: 1-line block ×7, first 2 shown]
	v_fma_f32 v16, v44, v0, -v16
	v_fmac_f32_e32 v17, v40, v0
	v_fma_f32 v18, v45, v2, -v1
	v_fmac_f32_e32 v19, v41, v2
	;; [unrolled: 2-line block ×8, first 2 shown]
	v_pk_mov_b32 v[0:1], v[16:17], v[16:17] op_sel:[0,1]
	v_pk_mov_b32 v[2:3], v[18:19], v[18:19] op_sel:[0,1]
	;; [unrolled: 1-line block ×8, first 2 shown]
.LBB12_8:
	s_or_b64 exec, exec, s[2:3]
	s_mov_b64 s[6:7], 0
                                        ; implicit-def: $vgpr19
                                        ; implicit-def: $vgpr20_vgpr21
	s_and_saveexec_b64 s[0:1], vcc
	s_xor_b64 s[2:3], exec, s[0:1]
	s_cbranch_execnz .LBB12_13
; %bb.9:
	s_andn2_saveexec_b64 s[2:3], s[2:3]
	s_cbranch_execnz .LBB12_276
.LBB12_10:
	s_or_b64 exec, exec, s[2:3]
	s_and_b64 exec, exec, s[6:7]
	s_cbranch_execz .LBB12_12
.LBB12_11:
	v_add_co_u32_e32 v0, vcc, v20, v38
	v_addc_co_u32_e32 v1, vcc, 0, v21, vcc
	global_store_dwordx4 v[0:1], v[16:19], off
.LBB12_12:
	s_endpgm
.LBB12_13:
	s_load_dwordx2 s[0:1], s[4:5], 0x30
                                        ; implicit-def: $vgpr19
                                        ; implicit-def: $vgpr20_vgpr21
	s_waitcnt lgkmcnt(0)
	v_mov_b32_e32 v17, s1
	v_add_co_u32_e32 v16, vcc, s0, v36
	v_addc_co_u32_e32 v17, vcc, v17, v37, vcc
	global_load_dwordx2 v[16:17], v[16:17], off
	s_mov_b64 s[0:1], 0
	s_waitcnt vmcnt(0)
	v_cmp_lt_i64_e32 vcc, -1, v[16:17]
	s_and_saveexec_b64 s[6:7], vcc
	s_cbranch_execz .LBB12_275
; %bb.14:
	s_load_dwordx2 s[8:9], s[4:5], 0x48
	s_ashr_i32 s17, s16, 31
	v_or_b32_e32 v19, s17, v17
	v_mov_b32_e32 v18, 0
	v_cmp_ne_u64_e32 vcc, 0, v[18:19]
                                        ; implicit-def: $vgpr18_vgpr19
	s_and_saveexec_b64 s[0:1], vcc
	s_xor_b64 s[10:11], exec, s[0:1]
	s_cbranch_execz .LBB12_16
; %bb.15:
	s_add_u32 s0, s16, s17
	s_mov_b32 s12, s17
	s_mov_b32 s13, s17
	s_addc_u32 s1, s17, s17
	s_xor_b64 s[14:15], s[0:1], s[12:13]
	v_cvt_f32_u32_e32 v18, s14
	v_cvt_f32_u32_e32 v19, s15
	s_sub_u32 s0, 0, s14
	s_subb_u32 s1, 0, s15
	v_madmk_f32 v18, v19, 0x4f800000, v18
	v_rcp_f32_e32 v18, v18
	v_mul_f32_e32 v18, 0x5f7ffffc, v18
	v_mul_f32_e32 v19, 0x2f800000, v18
	v_trunc_f32_e32 v19, v19
	v_madmk_f32 v18, v19, 0xcf800000, v18
	v_cvt_u32_f32_e32 v19, v19
	v_cvt_u32_f32_e32 v18, v18
	v_mul_lo_u32 v20, s0, v19
	v_mul_hi_u32 v22, s0, v18
	v_mul_lo_u32 v21, s1, v18
	v_add_u32_e32 v20, v22, v20
	v_mul_lo_u32 v23, s0, v18
	v_add_u32_e32 v20, v20, v21
	v_mul_lo_u32 v22, v18, v20
	v_mul_hi_u32 v24, v18, v23
	v_mul_hi_u32 v21, v18, v20
	v_add_co_u32_e32 v22, vcc, v24, v22
	v_addc_co_u32_e32 v21, vcc, 0, v21, vcc
	v_mul_hi_u32 v25, v19, v23
	v_mul_lo_u32 v23, v19, v23
	v_add_co_u32_e32 v22, vcc, v22, v23
	v_mul_hi_u32 v24, v19, v20
	v_addc_co_u32_e32 v21, vcc, v21, v25, vcc
	v_addc_co_u32_e32 v22, vcc, 0, v24, vcc
	v_mul_lo_u32 v20, v19, v20
	v_add_co_u32_e32 v20, vcc, v21, v20
	v_addc_co_u32_e32 v21, vcc, 0, v22, vcc
	v_add_co_u32_e32 v18, vcc, v18, v20
	v_addc_co_u32_e32 v19, vcc, v19, v21, vcc
	v_mul_lo_u32 v20, s0, v19
	v_mul_hi_u32 v21, s0, v18
	v_add_u32_e32 v20, v21, v20
	v_mul_lo_u32 v21, s1, v18
	v_add_u32_e32 v20, v20, v21
	v_mul_lo_u32 v22, s0, v18
	v_mul_hi_u32 v23, v19, v22
	v_mul_lo_u32 v24, v19, v22
	v_mul_lo_u32 v26, v18, v20
	v_mul_hi_u32 v22, v18, v22
	v_mul_hi_u32 v25, v18, v20
	v_add_co_u32_e32 v22, vcc, v22, v26
	v_addc_co_u32_e32 v25, vcc, 0, v25, vcc
	v_add_co_u32_e32 v22, vcc, v22, v24
	v_mul_hi_u32 v21, v19, v20
	v_addc_co_u32_e32 v22, vcc, v25, v23, vcc
	v_addc_co_u32_e32 v21, vcc, 0, v21, vcc
	v_mul_lo_u32 v20, v19, v20
	v_add_co_u32_e32 v20, vcc, v22, v20
	v_addc_co_u32_e32 v21, vcc, 0, v21, vcc
	v_add_co_u32_e32 v20, vcc, v18, v20
	v_addc_co_u32_e32 v21, vcc, v19, v21, vcc
	v_ashrrev_i32_e32 v22, 31, v17
	v_add_co_u32_e32 v18, vcc, v16, v22
	v_addc_co_u32_e32 v19, vcc, v17, v22, vcc
	v_xor_b32_e32 v24, v18, v22
	v_xor_b32_e32 v23, v19, v22
	v_mad_u64_u32 v[18:19], s[0:1], v24, v21, 0
	v_mul_hi_u32 v25, v24, v20
	v_add_co_u32_e32 v25, vcc, v25, v18
	v_addc_co_u32_e32 v26, vcc, 0, v19, vcc
	v_mad_u64_u32 v[18:19], s[0:1], v23, v21, 0
	v_mad_u64_u32 v[20:21], s[0:1], v23, v20, 0
	v_add_co_u32_e32 v20, vcc, v25, v20
	v_addc_co_u32_e32 v20, vcc, v26, v21, vcc
	v_addc_co_u32_e32 v19, vcc, 0, v19, vcc
	v_add_co_u32_e32 v20, vcc, v20, v18
	v_addc_co_u32_e32 v21, vcc, 0, v19, vcc
	v_mul_lo_u32 v25, s15, v20
	v_mul_lo_u32 v26, s14, v21
	v_mad_u64_u32 v[18:19], s[0:1], s14, v20, 0
	v_add3_u32 v19, v19, v26, v25
	v_sub_u32_e32 v25, v23, v19
	v_mov_b32_e32 v26, s15
	v_sub_co_u32_e32 v18, vcc, v24, v18
	v_subb_co_u32_e64 v24, s[0:1], v25, v26, vcc
	v_subrev_co_u32_e64 v25, s[0:1], s14, v18
	v_subbrev_co_u32_e64 v24, s[0:1], 0, v24, s[0:1]
	v_cmp_le_u32_e64 s[0:1], s15, v24
	v_cndmask_b32_e64 v26, 0, -1, s[0:1]
	v_cmp_le_u32_e64 s[0:1], s14, v25
	v_cndmask_b32_e64 v25, 0, -1, s[0:1]
	v_cmp_eq_u32_e64 s[0:1], s15, v24
	v_cndmask_b32_e64 v24, v26, v25, s[0:1]
	v_add_co_u32_e64 v25, s[0:1], 2, v20
	v_subb_co_u32_e32 v19, vcc, v23, v19, vcc
	v_addc_co_u32_e64 v26, s[0:1], 0, v21, s[0:1]
	v_cmp_le_u32_e32 vcc, s15, v19
	v_add_co_u32_e64 v27, s[0:1], 1, v20
	v_cndmask_b32_e64 v23, 0, -1, vcc
	v_cmp_le_u32_e32 vcc, s14, v18
	v_addc_co_u32_e64 v28, s[0:1], 0, v21, s[0:1]
	v_cndmask_b32_e64 v18, 0, -1, vcc
	v_cmp_eq_u32_e32 vcc, s15, v19
	v_cmp_ne_u32_e64 s[0:1], 0, v24
	v_cndmask_b32_e32 v18, v23, v18, vcc
	v_cndmask_b32_e64 v24, v28, v26, s[0:1]
	v_cmp_ne_u32_e32 vcc, 0, v18
	v_cndmask_b32_e64 v19, v27, v25, s[0:1]
	v_cndmask_b32_e32 v18, v21, v24, vcc
	v_cndmask_b32_e32 v19, v20, v19, vcc
	v_xor_b32_e32 v20, s13, v22
	v_xor_b32_e32 v21, s12, v22
	;; [unrolled: 1-line block ×4, first 2 shown]
	v_sub_co_u32_e32 v18, vcc, v18, v21
	v_subb_co_u32_e32 v19, vcc, v22, v20, vcc
.LBB12_16:
	s_andn2_saveexec_b64 s[0:1], s[10:11]
	s_cbranch_execz .LBB12_18
; %bb.17:
	v_cvt_f32_u32_e32 v18, s16
	s_sub_i32 s10, 0, s16
	v_rcp_iflag_f32_e32 v18, v18
	v_mul_f32_e32 v18, 0x4f7ffffe, v18
	v_cvt_u32_f32_e32 v18, v18
	v_mul_lo_u32 v19, s10, v18
	v_mul_hi_u32 v19, v18, v19
	v_add_u32_e32 v18, v18, v19
	v_mul_hi_u32 v18, v16, v18
	v_mul_lo_u32 v19, v18, s16
	v_sub_u32_e32 v19, v16, v19
	v_add_u32_e32 v20, 1, v18
	v_subrev_u32_e32 v21, s16, v19
	v_cmp_le_u32_e32 vcc, s16, v19
	v_cndmask_b32_e32 v19, v19, v21, vcc
	v_cndmask_b32_e32 v18, v18, v20, vcc
	v_add_u32_e32 v20, 1, v18
	v_cmp_le_u32_e32 vcc, s16, v19
	v_cndmask_b32_e32 v18, v18, v20, vcc
	v_mov_b32_e32 v19, 0
.LBB12_18:
	s_or_b64 exec, exec, s[0:1]
	s_waitcnt lgkmcnt(0)
	s_load_dword s8, s[8:9], 0x0
	v_mov_b32_e32 v21, 0
	v_mov_b32_e32 v27, v21
	s_waitcnt lgkmcnt(0)
	v_div_scale_f32 v20, s[0:1], s8, s8, 1.0
	v_rcp_f32_e32 v22, v20
	v_div_scale_f32 v23, vcc, 1.0, s8, 1.0
	s_movk_i32 s0, 0x80
	v_fma_f32 v24, -v20, v22, 1.0
	v_fmac_f32_e32 v22, v24, v22
	v_mul_f32_e32 v24, v23, v22
	v_fma_f32 v25, -v20, v24, v23
	v_fmac_f32_e32 v24, v25, v22
	v_fma_f32 v20, -v20, v24, v23
	v_div_fmas_f32 v20, v20, v22, v24
	v_div_fixup_f32 v23, v20, s8, 1.0
	v_mul_f32_e32 v0, v0, v23
	v_max_f32_e32 v0, 0xc3e00000, v0
	v_min_f32_e32 v24, 0x43e00000, v0
	v_and_b32_sdwa v0, v24, s0 dst_sel:DWORD dst_unused:UNUSED_PAD src0_sel:BYTE_3 src1_sel:DWORD
	v_and_b32_e32 v26, 0x7f800000, v24
	s_mov_b64 s[0:1], 0x7f800000
	v_and_b32_e32 v20, 0x7fffff, v24
	v_or_b32_e32 v22, 0x7e, v0
	v_cmp_ne_u64_e32 vcc, s[0:1], v[26:27]
	s_and_saveexec_b64 s[0:1], vcc
	s_xor_b64 s[8:9], exec, s[0:1]
	s_cbranch_execz .LBB12_32
; %bb.19:
	v_and_b32_e32 v26, 0x7fffffff, v24
	v_mov_b32_e32 v27, v21
	s_mov_b64 s[0:1], 0x43e00001
	v_cmp_gt_u64_e32 vcc, s[0:1], v[26:27]
	s_and_saveexec_b64 s[0:1], vcc
	s_xor_b64 s[10:11], exec, s[0:1]
	s_cbranch_execz .LBB12_31
; %bb.20:
	v_cmp_ne_u32_e32 vcc, 0, v24
	v_mov_b32_e32 v22, 0
	s_and_saveexec_b64 s[12:13], vcc
	s_cbranch_execz .LBB12_30
; %bb.21:
	v_bfe_u32 v22, v24, 23, 8
	s_movk_i32 s0, 0x7a
	v_sub_u32_e32 v25, 0x79, v22
	v_cmp_gt_u32_e32 vcc, s0, v22
	v_add_u32_e32 v24, 0xffffff81, v22
	v_cndmask_b32_e32 v25, 0, v25, vcc
	v_mov_b32_e32 v27, 0xffffff82
	v_cmp_eq_u32_e32 vcc, 0, v22
	v_cndmask_b32_e32 v22, v24, v27, vcc
	v_mov_b32_e32 v24, 0x78
	v_cndmask_b32_e32 v30, v25, v24, vcc
	v_add_u32_e32 v24, 20, v30
	v_or_b32_e32 v26, 0x800000, v20
	v_lshlrev_b64 v[24:25], v24, -1
	v_cndmask_b32_e32 v20, v26, v20, vcc
	v_not_b32_e32 v24, v24
	v_and_b32_e32 v26, v20, v24
	v_add_u32_e32 v24, 19, v30
	v_lshrrev_b64 v[20:21], v30, v[20:21]
	v_not_b32_e32 v25, v25
	v_lshlrev_b64 v[28:29], v24, 1
	v_lshrrev_b32_e32 v24, 23, v20
	v_and_b32_e32 v27, 0, v25
	v_add3_u32 v25, v30, v22, v24
	v_bfe_u32 v24, v20, 20, 1
	v_add_u32_e32 v24, -1, v24
	v_cmp_eq_u64_e32 vcc, v[26:27], v[28:29]
	v_cndmask_b32_e32 v24, 0, v24, vcc
	v_add_u32_e32 v24, v24, v20
	v_and_b32_e32 v24, 0xfffff, v24
	v_add_co_u32_e32 v20, vcc, v24, v20
	v_add_u32_e32 v22, 6, v25
	v_addc_co_u32_e32 v21, vcc, 0, v21, vcc
	v_cmp_ne_u32_e32 vcc, 0, v22
                                        ; implicit-def: $vgpr24
	s_and_saveexec_b64 s[0:1], vcc
	s_xor_b64 s[0:1], exec, s[0:1]
; %bb.22:
	s_mov_b64 s[14:15], 0xffffff
	v_add_u32_e32 v24, 7, v25
	v_cmp_lt_u64_e32 vcc, s[14:15], v[20:21]
	v_cndmask_b32_e32 v24, v22, v24, vcc
	v_cndmask_b32_e64 v22, 0, 1, vcc
	v_lshrrev_b64 v[20:21], v22, v[20:21]
; %bb.23:
	s_andn2_saveexec_b64 s[0:1], s[0:1]
; %bb.24:
	v_bfe_u32 v24, v20, 23, 1
; %bb.25:
	s_or_b64 exec, exec, s[0:1]
	v_lshrrev_b64 v[20:21], 20, v[20:21]
	v_cmp_gt_i32_e32 vcc, 16, v24
	v_cndmask_b32_e32 v21, 0, v21, vcc
	v_cndmask_b32_e32 v20, 7, v20, vcc
	v_cmp_ne_u32_e32 vcc, 0, v24
	v_cmp_ne_u64_e64 s[0:1], 0, v[20:21]
	s_or_b64 s[0:1], vcc, s[0:1]
                                        ; implicit-def: $vgpr22
	s_and_saveexec_b64 s[14:15], s[0:1]
	s_xor_b64 s[0:1], exec, s[14:15]
; %bb.26:
	v_min_i32_e32 v21, 15, v24
	v_lshl_or_b32 v0, v21, 3, v0
	v_and_or_b32 v22, v20, 7, v0
                                        ; implicit-def: $vgpr0
; %bb.27:
	s_andn2_saveexec_b64 s[0:1], s[0:1]
; %bb.28:
	v_mov_b32_e32 v22, v0
; %bb.29:
	s_or_b64 exec, exec, s[0:1]
.LBB12_30:
	s_or_b64 exec, exec, s[12:13]
.LBB12_31:
	s_andn2_saveexec_b64 s[0:1], s[10:11]
	s_or_b64 exec, exec, s[0:1]
                                        ; implicit-def: $vgpr24
                                        ; implicit-def: $vgpr20_vgpr21
.LBB12_32:
	s_andn2_saveexec_b64 s[0:1], s[8:9]
; %bb.33:
	s_movk_i32 s8, 0x7f
	v_or_b32_sdwa v0, v24, s8 dst_sel:DWORD dst_unused:UNUSED_PAD src0_sel:BYTE_3 src1_sel:DWORD
	v_cmp_eq_u64_e32 vcc, 0, v[20:21]
	v_cndmask_b32_e32 v22, v0, v22, vcc
; %bb.34:
	s_or_b64 exec, exec, s[0:1]
	v_mul_f32_e32 v0, v1, v23
	v_max_f32_e32 v0, 0xc3e00000, v0
	v_min_f32_e32 v21, 0x43e00000, v0
	v_mov_b32_e32 v1, 0
	s_movk_i32 s0, 0x80
	v_and_b32_sdwa v20, v21, s0 dst_sel:DWORD dst_unused:UNUSED_PAD src0_sel:BYTE_3 src1_sel:DWORD
	v_and_b32_e32 v26, 0x7f800000, v21
	v_mov_b32_e32 v27, v1
	s_mov_b64 s[0:1], 0x7f800000
	v_and_b32_e32 v0, 0x7fffff, v21
	v_or_b32_e32 v24, 0x7e, v20
	v_cmp_ne_u64_e32 vcc, s[0:1], v[26:27]
	s_and_saveexec_b64 s[0:1], vcc
	s_xor_b64 s[8:9], exec, s[0:1]
	s_cbranch_execz .LBB12_48
; %bb.35:
	v_and_b32_e32 v26, 0x7fffffff, v21
	v_mov_b32_e32 v27, v1
	s_mov_b64 s[0:1], 0x43e00001
	v_cmp_gt_u64_e32 vcc, s[0:1], v[26:27]
	s_and_saveexec_b64 s[0:1], vcc
	s_xor_b64 s[10:11], exec, s[0:1]
	s_cbranch_execz .LBB12_47
; %bb.36:
	v_cmp_ne_u32_e32 vcc, 0, v21
	v_mov_b32_e32 v24, 0
	s_and_saveexec_b64 s[12:13], vcc
	s_cbranch_execz .LBB12_46
; %bb.37:
	v_bfe_u32 v21, v21, 23, 8
	s_movk_i32 s0, 0x7a
	v_sub_u32_e32 v25, 0x79, v21
	v_cmp_gt_u32_e32 vcc, s0, v21
	v_add_u32_e32 v24, 0xffffff81, v21
	v_cndmask_b32_e32 v25, 0, v25, vcc
	v_mov_b32_e32 v27, 0xffffff82
	v_cmp_eq_u32_e32 vcc, 0, v21
	v_cndmask_b32_e32 v21, v24, v27, vcc
	v_mov_b32_e32 v24, 0x78
	v_cndmask_b32_e32 v30, v25, v24, vcc
	v_add_u32_e32 v24, 20, v30
	v_or_b32_e32 v26, 0x800000, v0
	v_lshlrev_b64 v[24:25], v24, -1
	v_cndmask_b32_e32 v0, v26, v0, vcc
	v_not_b32_e32 v24, v24
	v_and_b32_e32 v26, v0, v24
	v_add_u32_e32 v24, 19, v30
	v_lshrrev_b64 v[0:1], v30, v[0:1]
	v_not_b32_e32 v25, v25
	v_lshlrev_b64 v[28:29], v24, 1
	v_lshrrev_b32_e32 v24, 23, v0
	v_and_b32_e32 v27, 0, v25
	v_add3_u32 v25, v30, v21, v24
	v_bfe_u32 v21, v0, 20, 1
	v_add_u32_e32 v21, -1, v21
	v_cmp_eq_u64_e32 vcc, v[26:27], v[28:29]
	v_cndmask_b32_e32 v21, 0, v21, vcc
	v_add_u32_e32 v21, v21, v0
	v_and_b32_e32 v21, 0xfffff, v21
	v_add_co_u32_e32 v0, vcc, v21, v0
	v_add_u32_e32 v24, 6, v25
	v_addc_co_u32_e32 v1, vcc, 0, v1, vcc
	v_cmp_ne_u32_e32 vcc, 0, v24
                                        ; implicit-def: $vgpr21
	s_and_saveexec_b64 s[0:1], vcc
	s_xor_b64 s[0:1], exec, s[0:1]
; %bb.38:
	s_mov_b64 s[14:15], 0xffffff
	v_add_u32_e32 v21, 7, v25
	v_cmp_lt_u64_e32 vcc, s[14:15], v[0:1]
	v_cndmask_b32_e32 v21, v24, v21, vcc
	v_cndmask_b32_e64 v24, 0, 1, vcc
	v_lshrrev_b64 v[0:1], v24, v[0:1]
; %bb.39:
	s_andn2_saveexec_b64 s[0:1], s[0:1]
; %bb.40:
	v_bfe_u32 v21, v0, 23, 1
; %bb.41:
	s_or_b64 exec, exec, s[0:1]
	v_lshrrev_b64 v[0:1], 20, v[0:1]
	v_cmp_gt_i32_e32 vcc, 16, v21
	v_cndmask_b32_e32 v1, 0, v1, vcc
	v_cndmask_b32_e32 v0, 7, v0, vcc
	v_cmp_ne_u32_e32 vcc, 0, v21
	v_cmp_ne_u64_e64 s[0:1], 0, v[0:1]
	s_or_b64 s[0:1], vcc, s[0:1]
                                        ; implicit-def: $vgpr24
	s_and_saveexec_b64 s[14:15], s[0:1]
	s_xor_b64 s[0:1], exec, s[14:15]
; %bb.42:
	v_min_i32_e32 v1, 15, v21
	v_lshl_or_b32 v1, v1, 3, v20
	v_and_or_b32 v24, v0, 7, v1
                                        ; implicit-def: $vgpr20
; %bb.43:
	s_andn2_saveexec_b64 s[0:1], s[0:1]
; %bb.44:
	v_mov_b32_e32 v24, v20
; %bb.45:
	s_or_b64 exec, exec, s[0:1]
.LBB12_46:
	s_or_b64 exec, exec, s[12:13]
.LBB12_47:
	s_andn2_saveexec_b64 s[0:1], s[10:11]
	s_or_b64 exec, exec, s[0:1]
                                        ; implicit-def: $vgpr21
                                        ; implicit-def: $vgpr0_vgpr1
.LBB12_48:
	s_andn2_saveexec_b64 s[0:1], s[8:9]
; %bb.49:
	s_movk_i32 s8, 0x7f
	v_or_b32_sdwa v20, v21, s8 dst_sel:DWORD dst_unused:UNUSED_PAD src0_sel:BYTE_3 src1_sel:DWORD
	v_cmp_eq_u64_e32 vcc, 0, v[0:1]
	v_cndmask_b32_e32 v24, v20, v24, vcc
; %bb.50:
	s_or_b64 exec, exec, s[0:1]
	v_mul_f32_e32 v0, v2, v23
	v_max_f32_e32 v0, 0xc3e00000, v0
	v_min_f32_e32 v21, 0x43e00000, v0
	v_mov_b32_e32 v1, 0
	s_movk_i32 s0, 0x80
	v_and_b32_sdwa v20, v21, s0 dst_sel:DWORD dst_unused:UNUSED_PAD src0_sel:BYTE_3 src1_sel:DWORD
	v_and_b32_e32 v26, 0x7f800000, v21
	v_mov_b32_e32 v27, v1
	s_mov_b64 s[0:1], 0x7f800000
	v_and_b32_e32 v0, 0x7fffff, v21
	v_or_b32_e32 v2, 0x7e, v20
	v_cmp_ne_u64_e32 vcc, s[0:1], v[26:27]
	s_and_saveexec_b64 s[0:1], vcc
	s_xor_b64 s[8:9], exec, s[0:1]
	s_cbranch_execz .LBB12_64
; %bb.51:
	v_and_b32_e32 v26, 0x7fffffff, v21
	v_mov_b32_e32 v27, v1
	s_mov_b64 s[0:1], 0x43e00001
	v_cmp_gt_u64_e32 vcc, s[0:1], v[26:27]
	s_and_saveexec_b64 s[0:1], vcc
	s_xor_b64 s[10:11], exec, s[0:1]
	s_cbranch_execz .LBB12_63
; %bb.52:
	v_cmp_ne_u32_e32 vcc, 0, v21
	v_mov_b32_e32 v2, 0
	s_and_saveexec_b64 s[12:13], vcc
	s_cbranch_execz .LBB12_62
; %bb.53:
	v_bfe_u32 v2, v21, 23, 8
	s_movk_i32 s0, 0x7a
	v_sub_u32_e32 v25, 0x79, v2
	v_cmp_gt_u32_e32 vcc, s0, v2
	v_add_u32_e32 v21, 0xffffff81, v2
	v_cndmask_b32_e32 v25, 0, v25, vcc
	v_mov_b32_e32 v27, 0xffffff82
	v_cmp_eq_u32_e32 vcc, 0, v2
	v_cndmask_b32_e32 v2, v21, v27, vcc
	v_mov_b32_e32 v21, 0x78
	v_cndmask_b32_e32 v21, v25, v21, vcc
	v_or_b32_e32 v26, 0x800000, v0
	v_add_u32_e32 v25, 20, v21
	v_cndmask_b32_e32 v0, v26, v0, vcc
	v_lshlrev_b64 v[26:27], v25, -1
	v_not_b32_e32 v25, v27
	v_not_b32_e32 v26, v26
	v_and_b32_e32 v27, 0, v25
	v_and_b32_e32 v26, v0, v26
	v_add_u32_e32 v25, 19, v21
	v_lshrrev_b64 v[0:1], v21, v[0:1]
	v_lshlrev_b64 v[28:29], v25, 1
	v_lshrrev_b32_e32 v25, 23, v0
	v_add3_u32 v25, v21, v2, v25
	v_bfe_u32 v21, v0, 20, 1
	v_add_u32_e32 v21, -1, v21
	v_cmp_eq_u64_e32 vcc, v[26:27], v[28:29]
	v_cndmask_b32_e32 v21, 0, v21, vcc
	v_add_u32_e32 v21, v21, v0
	v_and_b32_e32 v21, 0xfffff, v21
	v_add_co_u32_e32 v0, vcc, v21, v0
	v_add_u32_e32 v2, 6, v25
	v_addc_co_u32_e32 v1, vcc, 0, v1, vcc
	v_cmp_ne_u32_e32 vcc, 0, v2
                                        ; implicit-def: $vgpr21
	s_and_saveexec_b64 s[0:1], vcc
	s_xor_b64 s[0:1], exec, s[0:1]
; %bb.54:
	s_mov_b64 s[14:15], 0xffffff
	v_add_u32_e32 v21, 7, v25
	v_cmp_lt_u64_e32 vcc, s[14:15], v[0:1]
	v_cndmask_b32_e32 v21, v2, v21, vcc
	v_cndmask_b32_e64 v2, 0, 1, vcc
	v_lshrrev_b64 v[0:1], v2, v[0:1]
; %bb.55:
	s_andn2_saveexec_b64 s[0:1], s[0:1]
; %bb.56:
	v_bfe_u32 v21, v0, 23, 1
; %bb.57:
	s_or_b64 exec, exec, s[0:1]
	v_lshrrev_b64 v[0:1], 20, v[0:1]
	v_cmp_gt_i32_e32 vcc, 16, v21
	v_cndmask_b32_e32 v1, 0, v1, vcc
	v_cndmask_b32_e32 v0, 7, v0, vcc
	v_cmp_ne_u32_e32 vcc, 0, v21
	v_cmp_ne_u64_e64 s[0:1], 0, v[0:1]
	s_or_b64 s[0:1], vcc, s[0:1]
                                        ; implicit-def: $vgpr2
	s_and_saveexec_b64 s[14:15], s[0:1]
	s_xor_b64 s[0:1], exec, s[14:15]
; %bb.58:
	v_min_i32_e32 v1, 15, v21
	v_lshl_or_b32 v1, v1, 3, v20
	v_and_or_b32 v2, v0, 7, v1
                                        ; implicit-def: $vgpr20
; %bb.59:
	s_andn2_saveexec_b64 s[0:1], s[0:1]
; %bb.60:
	v_mov_b32_e32 v2, v20
; %bb.61:
	s_or_b64 exec, exec, s[0:1]
.LBB12_62:
	s_or_b64 exec, exec, s[12:13]
.LBB12_63:
	s_andn2_saveexec_b64 s[0:1], s[10:11]
	s_or_b64 exec, exec, s[0:1]
                                        ; implicit-def: $vgpr21
                                        ; implicit-def: $vgpr0_vgpr1
.LBB12_64:
	s_andn2_saveexec_b64 s[0:1], s[8:9]
; %bb.65:
	s_movk_i32 s8, 0x7f
	v_or_b32_sdwa v20, v21, s8 dst_sel:DWORD dst_unused:UNUSED_PAD src0_sel:BYTE_3 src1_sel:DWORD
	v_cmp_eq_u64_e32 vcc, 0, v[0:1]
	v_cndmask_b32_e32 v2, v20, v2, vcc
; %bb.66:
	s_or_b64 exec, exec, s[0:1]
	v_mul_f32_e32 v0, v3, v23
	v_max_f32_e32 v0, 0xc3e00000, v0
	v_min_f32_e32 v21, 0x43e00000, v0
	v_mov_b32_e32 v1, 0
	s_movk_i32 s0, 0x80
	v_and_b32_sdwa v20, v21, s0 dst_sel:DWORD dst_unused:UNUSED_PAD src0_sel:BYTE_3 src1_sel:DWORD
	v_and_b32_e32 v26, 0x7f800000, v21
	v_mov_b32_e32 v27, v1
	s_mov_b64 s[0:1], 0x7f800000
	v_and_b32_e32 v0, 0x7fffff, v21
	v_or_b32_e32 v3, 0x7e, v20
	v_cmp_ne_u64_e32 vcc, s[0:1], v[26:27]
	s_and_saveexec_b64 s[0:1], vcc
	s_xor_b64 s[8:9], exec, s[0:1]
	s_cbranch_execz .LBB12_80
; %bb.67:
	v_and_b32_e32 v26, 0x7fffffff, v21
	v_mov_b32_e32 v27, v1
	s_mov_b64 s[0:1], 0x43e00001
	v_cmp_gt_u64_e32 vcc, s[0:1], v[26:27]
	s_and_saveexec_b64 s[0:1], vcc
	s_xor_b64 s[10:11], exec, s[0:1]
	s_cbranch_execz .LBB12_79
; %bb.68:
	v_cmp_ne_u32_e32 vcc, 0, v21
	v_mov_b32_e32 v3, 0
	s_and_saveexec_b64 s[12:13], vcc
	s_cbranch_execz .LBB12_78
; %bb.69:
	v_bfe_u32 v3, v21, 23, 8
	s_movk_i32 s0, 0x7a
	v_sub_u32_e32 v25, 0x79, v3
	v_cmp_gt_u32_e32 vcc, s0, v3
	v_add_u32_e32 v21, 0xffffff81, v3
	v_cndmask_b32_e32 v25, 0, v25, vcc
	v_mov_b32_e32 v27, 0xffffff82
	v_cmp_eq_u32_e32 vcc, 0, v3
	v_cndmask_b32_e32 v3, v21, v27, vcc
	v_mov_b32_e32 v21, 0x78
	v_cndmask_b32_e32 v21, v25, v21, vcc
	v_or_b32_e32 v26, 0x800000, v0
	v_add_u32_e32 v25, 20, v21
	v_cndmask_b32_e32 v0, v26, v0, vcc
	v_lshlrev_b64 v[26:27], v25, -1
	v_not_b32_e32 v25, v27
	v_not_b32_e32 v26, v26
	v_and_b32_e32 v27, 0, v25
	v_and_b32_e32 v26, v0, v26
	v_add_u32_e32 v25, 19, v21
	v_lshrrev_b64 v[0:1], v21, v[0:1]
	v_lshlrev_b64 v[28:29], v25, 1
	v_lshrrev_b32_e32 v25, 23, v0
	v_add3_u32 v25, v21, v3, v25
	v_bfe_u32 v21, v0, 20, 1
	v_add_u32_e32 v21, -1, v21
	v_cmp_eq_u64_e32 vcc, v[26:27], v[28:29]
	v_cndmask_b32_e32 v21, 0, v21, vcc
	v_add_u32_e32 v21, v21, v0
	v_and_b32_e32 v21, 0xfffff, v21
	v_add_co_u32_e32 v0, vcc, v21, v0
	v_add_u32_e32 v3, 6, v25
	v_addc_co_u32_e32 v1, vcc, 0, v1, vcc
	v_cmp_ne_u32_e32 vcc, 0, v3
                                        ; implicit-def: $vgpr21
	s_and_saveexec_b64 s[0:1], vcc
	s_xor_b64 s[0:1], exec, s[0:1]
; %bb.70:
	s_mov_b64 s[14:15], 0xffffff
	v_add_u32_e32 v21, 7, v25
	v_cmp_lt_u64_e32 vcc, s[14:15], v[0:1]
	v_cndmask_b32_e32 v21, v3, v21, vcc
	v_cndmask_b32_e64 v3, 0, 1, vcc
	v_lshrrev_b64 v[0:1], v3, v[0:1]
; %bb.71:
	s_andn2_saveexec_b64 s[0:1], s[0:1]
; %bb.72:
	v_bfe_u32 v21, v0, 23, 1
; %bb.73:
	s_or_b64 exec, exec, s[0:1]
	v_lshrrev_b64 v[0:1], 20, v[0:1]
	v_cmp_gt_i32_e32 vcc, 16, v21
	v_cndmask_b32_e32 v1, 0, v1, vcc
	v_cndmask_b32_e32 v0, 7, v0, vcc
	v_cmp_ne_u32_e32 vcc, 0, v21
	v_cmp_ne_u64_e64 s[0:1], 0, v[0:1]
	s_or_b64 s[0:1], vcc, s[0:1]
                                        ; implicit-def: $vgpr3
	s_and_saveexec_b64 s[14:15], s[0:1]
	s_xor_b64 s[0:1], exec, s[14:15]
; %bb.74:
	v_min_i32_e32 v1, 15, v21
	v_lshl_or_b32 v1, v1, 3, v20
	v_and_or_b32 v3, v0, 7, v1
                                        ; implicit-def: $vgpr20
; %bb.75:
	s_andn2_saveexec_b64 s[0:1], s[0:1]
; %bb.76:
	v_mov_b32_e32 v3, v20
; %bb.77:
	s_or_b64 exec, exec, s[0:1]
.LBB12_78:
	s_or_b64 exec, exec, s[12:13]
.LBB12_79:
	s_andn2_saveexec_b64 s[0:1], s[10:11]
	s_or_b64 exec, exec, s[0:1]
                                        ; implicit-def: $vgpr21
                                        ; implicit-def: $vgpr0_vgpr1
.LBB12_80:
	s_andn2_saveexec_b64 s[0:1], s[8:9]
; %bb.81:
	s_movk_i32 s8, 0x7f
	v_or_b32_sdwa v20, v21, s8 dst_sel:DWORD dst_unused:UNUSED_PAD src0_sel:BYTE_3 src1_sel:DWORD
	v_cmp_eq_u64_e32 vcc, 0, v[0:1]
	v_cndmask_b32_e32 v3, v20, v3, vcc
; %bb.82:
	s_or_b64 exec, exec, s[0:1]
	v_mul_f32_e32 v0, v4, v23
	v_max_f32_e32 v0, 0xc3e00000, v0
	v_min_f32_e32 v21, 0x43e00000, v0
	v_mov_b32_e32 v1, 0
	s_movk_i32 s0, 0x80
	v_and_b32_sdwa v20, v21, s0 dst_sel:DWORD dst_unused:UNUSED_PAD src0_sel:BYTE_3 src1_sel:DWORD
	v_and_b32_e32 v26, 0x7f800000, v21
	v_mov_b32_e32 v27, v1
	s_mov_b64 s[0:1], 0x7f800000
	v_and_b32_e32 v0, 0x7fffff, v21
	v_or_b32_e32 v4, 0x7e, v20
	v_cmp_ne_u64_e32 vcc, s[0:1], v[26:27]
	s_and_saveexec_b64 s[0:1], vcc
	s_xor_b64 s[8:9], exec, s[0:1]
	s_cbranch_execz .LBB12_96
; %bb.83:
	v_and_b32_e32 v26, 0x7fffffff, v21
	v_mov_b32_e32 v27, v1
	s_mov_b64 s[0:1], 0x43e00001
	v_cmp_gt_u64_e32 vcc, s[0:1], v[26:27]
	s_and_saveexec_b64 s[0:1], vcc
	s_xor_b64 s[10:11], exec, s[0:1]
	s_cbranch_execz .LBB12_95
; %bb.84:
	v_cmp_ne_u32_e32 vcc, 0, v21
	v_mov_b32_e32 v4, 0
	s_and_saveexec_b64 s[12:13], vcc
	s_cbranch_execz .LBB12_94
; %bb.85:
	v_bfe_u32 v4, v21, 23, 8
	s_movk_i32 s0, 0x7a
	v_sub_u32_e32 v25, 0x79, v4
	v_cmp_gt_u32_e32 vcc, s0, v4
	v_add_u32_e32 v21, 0xffffff81, v4
	v_cndmask_b32_e32 v25, 0, v25, vcc
	v_mov_b32_e32 v27, 0xffffff82
	v_cmp_eq_u32_e32 vcc, 0, v4
	v_cndmask_b32_e32 v4, v21, v27, vcc
	v_mov_b32_e32 v21, 0x78
	v_cndmask_b32_e32 v21, v25, v21, vcc
	v_or_b32_e32 v26, 0x800000, v0
	v_add_u32_e32 v25, 20, v21
	v_cndmask_b32_e32 v0, v26, v0, vcc
	v_lshlrev_b64 v[26:27], v25, -1
	v_not_b32_e32 v25, v27
	v_not_b32_e32 v26, v26
	v_and_b32_e32 v27, 0, v25
	v_and_b32_e32 v26, v0, v26
	v_add_u32_e32 v25, 19, v21
	v_lshrrev_b64 v[0:1], v21, v[0:1]
	v_lshlrev_b64 v[28:29], v25, 1
	v_lshrrev_b32_e32 v25, 23, v0
	v_add3_u32 v25, v21, v4, v25
	v_bfe_u32 v21, v0, 20, 1
	v_add_u32_e32 v21, -1, v21
	v_cmp_eq_u64_e32 vcc, v[26:27], v[28:29]
	v_cndmask_b32_e32 v21, 0, v21, vcc
	v_add_u32_e32 v21, v21, v0
	v_and_b32_e32 v21, 0xfffff, v21
	v_add_co_u32_e32 v0, vcc, v21, v0
	v_add_u32_e32 v4, 6, v25
	v_addc_co_u32_e32 v1, vcc, 0, v1, vcc
	v_cmp_ne_u32_e32 vcc, 0, v4
                                        ; implicit-def: $vgpr21
	s_and_saveexec_b64 s[0:1], vcc
	s_xor_b64 s[0:1], exec, s[0:1]
; %bb.86:
	s_mov_b64 s[14:15], 0xffffff
	v_add_u32_e32 v21, 7, v25
	v_cmp_lt_u64_e32 vcc, s[14:15], v[0:1]
	v_cndmask_b32_e32 v21, v4, v21, vcc
	v_cndmask_b32_e64 v4, 0, 1, vcc
	v_lshrrev_b64 v[0:1], v4, v[0:1]
; %bb.87:
	s_andn2_saveexec_b64 s[0:1], s[0:1]
; %bb.88:
	v_bfe_u32 v21, v0, 23, 1
; %bb.89:
	s_or_b64 exec, exec, s[0:1]
	v_lshrrev_b64 v[0:1], 20, v[0:1]
	v_cmp_gt_i32_e32 vcc, 16, v21
	v_cndmask_b32_e32 v1, 0, v1, vcc
	v_cndmask_b32_e32 v0, 7, v0, vcc
	v_cmp_ne_u32_e32 vcc, 0, v21
	v_cmp_ne_u64_e64 s[0:1], 0, v[0:1]
	s_or_b64 s[0:1], vcc, s[0:1]
                                        ; implicit-def: $vgpr4
	s_and_saveexec_b64 s[14:15], s[0:1]
	s_xor_b64 s[0:1], exec, s[14:15]
; %bb.90:
	v_min_i32_e32 v1, 15, v21
	v_lshl_or_b32 v1, v1, 3, v20
	v_and_or_b32 v4, v0, 7, v1
                                        ; implicit-def: $vgpr20
; %bb.91:
	s_andn2_saveexec_b64 s[0:1], s[0:1]
; %bb.92:
	v_mov_b32_e32 v4, v20
; %bb.93:
	s_or_b64 exec, exec, s[0:1]
.LBB12_94:
	s_or_b64 exec, exec, s[12:13]
.LBB12_95:
	s_andn2_saveexec_b64 s[0:1], s[10:11]
	s_or_b64 exec, exec, s[0:1]
                                        ; implicit-def: $vgpr21
                                        ; implicit-def: $vgpr0_vgpr1
.LBB12_96:
	s_andn2_saveexec_b64 s[0:1], s[8:9]
; %bb.97:
	s_movk_i32 s8, 0x7f
	v_or_b32_sdwa v20, v21, s8 dst_sel:DWORD dst_unused:UNUSED_PAD src0_sel:BYTE_3 src1_sel:DWORD
	v_cmp_eq_u64_e32 vcc, 0, v[0:1]
	v_cndmask_b32_e32 v4, v20, v4, vcc
; %bb.98:
	s_or_b64 exec, exec, s[0:1]
	v_mul_f32_e32 v0, v5, v23
	v_max_f32_e32 v0, 0xc3e00000, v0
	v_min_f32_e32 v21, 0x43e00000, v0
	v_mov_b32_e32 v1, 0
	s_movk_i32 s0, 0x80
	v_and_b32_sdwa v20, v21, s0 dst_sel:DWORD dst_unused:UNUSED_PAD src0_sel:BYTE_3 src1_sel:DWORD
	v_and_b32_e32 v26, 0x7f800000, v21
	v_mov_b32_e32 v27, v1
	s_mov_b64 s[0:1], 0x7f800000
	v_and_b32_e32 v0, 0x7fffff, v21
	v_or_b32_e32 v5, 0x7e, v20
	v_cmp_ne_u64_e32 vcc, s[0:1], v[26:27]
	s_and_saveexec_b64 s[0:1], vcc
	s_xor_b64 s[8:9], exec, s[0:1]
	s_cbranch_execz .LBB12_112
; %bb.99:
	v_and_b32_e32 v26, 0x7fffffff, v21
	v_mov_b32_e32 v27, v1
	s_mov_b64 s[0:1], 0x43e00001
	v_cmp_gt_u64_e32 vcc, s[0:1], v[26:27]
	s_and_saveexec_b64 s[0:1], vcc
	s_xor_b64 s[10:11], exec, s[0:1]
	s_cbranch_execz .LBB12_111
; %bb.100:
	v_cmp_ne_u32_e32 vcc, 0, v21
	v_mov_b32_e32 v5, 0
	s_and_saveexec_b64 s[12:13], vcc
	s_cbranch_execz .LBB12_110
; %bb.101:
	v_bfe_u32 v5, v21, 23, 8
	s_movk_i32 s0, 0x7a
	v_sub_u32_e32 v25, 0x79, v5
	v_cmp_gt_u32_e32 vcc, s0, v5
	v_add_u32_e32 v21, 0xffffff81, v5
	v_cndmask_b32_e32 v25, 0, v25, vcc
	v_mov_b32_e32 v27, 0xffffff82
	v_cmp_eq_u32_e32 vcc, 0, v5
	v_cndmask_b32_e32 v5, v21, v27, vcc
	v_mov_b32_e32 v21, 0x78
	v_cndmask_b32_e32 v21, v25, v21, vcc
	v_or_b32_e32 v26, 0x800000, v0
	v_add_u32_e32 v25, 20, v21
	v_cndmask_b32_e32 v0, v26, v0, vcc
	v_lshlrev_b64 v[26:27], v25, -1
	v_not_b32_e32 v25, v27
	v_not_b32_e32 v26, v26
	v_and_b32_e32 v27, 0, v25
	v_and_b32_e32 v26, v0, v26
	v_add_u32_e32 v25, 19, v21
	v_lshrrev_b64 v[0:1], v21, v[0:1]
	v_lshlrev_b64 v[28:29], v25, 1
	v_lshrrev_b32_e32 v25, 23, v0
	v_add3_u32 v25, v21, v5, v25
	v_bfe_u32 v21, v0, 20, 1
	v_add_u32_e32 v21, -1, v21
	v_cmp_eq_u64_e32 vcc, v[26:27], v[28:29]
	v_cndmask_b32_e32 v21, 0, v21, vcc
	v_add_u32_e32 v21, v21, v0
	v_and_b32_e32 v21, 0xfffff, v21
	v_add_co_u32_e32 v0, vcc, v21, v0
	v_add_u32_e32 v5, 6, v25
	v_addc_co_u32_e32 v1, vcc, 0, v1, vcc
	v_cmp_ne_u32_e32 vcc, 0, v5
                                        ; implicit-def: $vgpr21
	s_and_saveexec_b64 s[0:1], vcc
	s_xor_b64 s[0:1], exec, s[0:1]
; %bb.102:
	s_mov_b64 s[14:15], 0xffffff
	v_add_u32_e32 v21, 7, v25
	v_cmp_lt_u64_e32 vcc, s[14:15], v[0:1]
	v_cndmask_b32_e32 v21, v5, v21, vcc
	v_cndmask_b32_e64 v5, 0, 1, vcc
	v_lshrrev_b64 v[0:1], v5, v[0:1]
; %bb.103:
	s_andn2_saveexec_b64 s[0:1], s[0:1]
; %bb.104:
	v_bfe_u32 v21, v0, 23, 1
; %bb.105:
	s_or_b64 exec, exec, s[0:1]
	v_lshrrev_b64 v[0:1], 20, v[0:1]
	v_cmp_gt_i32_e32 vcc, 16, v21
	v_cndmask_b32_e32 v1, 0, v1, vcc
	v_cndmask_b32_e32 v0, 7, v0, vcc
	v_cmp_ne_u32_e32 vcc, 0, v21
	v_cmp_ne_u64_e64 s[0:1], 0, v[0:1]
	s_or_b64 s[0:1], vcc, s[0:1]
                                        ; implicit-def: $vgpr5
	s_and_saveexec_b64 s[14:15], s[0:1]
	s_xor_b64 s[0:1], exec, s[14:15]
; %bb.106:
	v_min_i32_e32 v1, 15, v21
	v_lshl_or_b32 v1, v1, 3, v20
	v_and_or_b32 v5, v0, 7, v1
                                        ; implicit-def: $vgpr20
; %bb.107:
	s_andn2_saveexec_b64 s[0:1], s[0:1]
; %bb.108:
	v_mov_b32_e32 v5, v20
; %bb.109:
	s_or_b64 exec, exec, s[0:1]
.LBB12_110:
	s_or_b64 exec, exec, s[12:13]
.LBB12_111:
	s_andn2_saveexec_b64 s[0:1], s[10:11]
	s_or_b64 exec, exec, s[0:1]
                                        ; implicit-def: $vgpr21
                                        ; implicit-def: $vgpr0_vgpr1
.LBB12_112:
	s_andn2_saveexec_b64 s[0:1], s[8:9]
; %bb.113:
	s_movk_i32 s8, 0x7f
	v_or_b32_sdwa v20, v21, s8 dst_sel:DWORD dst_unused:UNUSED_PAD src0_sel:BYTE_3 src1_sel:DWORD
	v_cmp_eq_u64_e32 vcc, 0, v[0:1]
	v_cndmask_b32_e32 v5, v20, v5, vcc
; %bb.114:
	s_or_b64 exec, exec, s[0:1]
	v_mul_f32_e32 v0, v6, v23
	v_max_f32_e32 v0, 0xc3e00000, v0
	v_min_f32_e32 v21, 0x43e00000, v0
	v_mov_b32_e32 v1, 0
	s_movk_i32 s0, 0x80
	v_and_b32_sdwa v20, v21, s0 dst_sel:DWORD dst_unused:UNUSED_PAD src0_sel:BYTE_3 src1_sel:DWORD
	v_and_b32_e32 v26, 0x7f800000, v21
	v_mov_b32_e32 v27, v1
	s_mov_b64 s[0:1], 0x7f800000
	v_and_b32_e32 v0, 0x7fffff, v21
	v_or_b32_e32 v6, 0x7e, v20
	v_cmp_ne_u64_e32 vcc, s[0:1], v[26:27]
	s_and_saveexec_b64 s[0:1], vcc
	s_xor_b64 s[8:9], exec, s[0:1]
	s_cbranch_execz .LBB12_128
; %bb.115:
	v_and_b32_e32 v26, 0x7fffffff, v21
	v_mov_b32_e32 v27, v1
	s_mov_b64 s[0:1], 0x43e00001
	v_cmp_gt_u64_e32 vcc, s[0:1], v[26:27]
	s_and_saveexec_b64 s[0:1], vcc
	s_xor_b64 s[10:11], exec, s[0:1]
	s_cbranch_execz .LBB12_127
; %bb.116:
	v_cmp_ne_u32_e32 vcc, 0, v21
	v_mov_b32_e32 v6, 0
	s_and_saveexec_b64 s[12:13], vcc
	s_cbranch_execz .LBB12_126
; %bb.117:
	v_bfe_u32 v6, v21, 23, 8
	s_movk_i32 s0, 0x7a
	v_sub_u32_e32 v25, 0x79, v6
	v_cmp_gt_u32_e32 vcc, s0, v6
	v_add_u32_e32 v21, 0xffffff81, v6
	v_cndmask_b32_e32 v25, 0, v25, vcc
	v_mov_b32_e32 v27, 0xffffff82
	v_cmp_eq_u32_e32 vcc, 0, v6
	v_cndmask_b32_e32 v6, v21, v27, vcc
	v_mov_b32_e32 v21, 0x78
	v_cndmask_b32_e32 v21, v25, v21, vcc
	v_or_b32_e32 v26, 0x800000, v0
	v_add_u32_e32 v25, 20, v21
	v_cndmask_b32_e32 v0, v26, v0, vcc
	v_lshlrev_b64 v[26:27], v25, -1
	v_not_b32_e32 v25, v27
	v_not_b32_e32 v26, v26
	v_and_b32_e32 v27, 0, v25
	v_and_b32_e32 v26, v0, v26
	v_add_u32_e32 v25, 19, v21
	v_lshrrev_b64 v[0:1], v21, v[0:1]
	v_lshlrev_b64 v[28:29], v25, 1
	v_lshrrev_b32_e32 v25, 23, v0
	v_add3_u32 v25, v21, v6, v25
	v_bfe_u32 v21, v0, 20, 1
	v_add_u32_e32 v21, -1, v21
	v_cmp_eq_u64_e32 vcc, v[26:27], v[28:29]
	v_cndmask_b32_e32 v21, 0, v21, vcc
	v_add_u32_e32 v21, v21, v0
	v_and_b32_e32 v21, 0xfffff, v21
	v_add_co_u32_e32 v0, vcc, v21, v0
	v_add_u32_e32 v6, 6, v25
	v_addc_co_u32_e32 v1, vcc, 0, v1, vcc
	v_cmp_ne_u32_e32 vcc, 0, v6
                                        ; implicit-def: $vgpr21
	s_and_saveexec_b64 s[0:1], vcc
	s_xor_b64 s[0:1], exec, s[0:1]
; %bb.118:
	s_mov_b64 s[14:15], 0xffffff
	v_add_u32_e32 v21, 7, v25
	v_cmp_lt_u64_e32 vcc, s[14:15], v[0:1]
	v_cndmask_b32_e32 v21, v6, v21, vcc
	v_cndmask_b32_e64 v6, 0, 1, vcc
	v_lshrrev_b64 v[0:1], v6, v[0:1]
; %bb.119:
	s_andn2_saveexec_b64 s[0:1], s[0:1]
; %bb.120:
	v_bfe_u32 v21, v0, 23, 1
; %bb.121:
	s_or_b64 exec, exec, s[0:1]
	v_lshrrev_b64 v[0:1], 20, v[0:1]
	v_cmp_gt_i32_e32 vcc, 16, v21
	v_cndmask_b32_e32 v1, 0, v1, vcc
	v_cndmask_b32_e32 v0, 7, v0, vcc
	v_cmp_ne_u32_e32 vcc, 0, v21
	v_cmp_ne_u64_e64 s[0:1], 0, v[0:1]
	s_or_b64 s[0:1], vcc, s[0:1]
                                        ; implicit-def: $vgpr6
	s_and_saveexec_b64 s[14:15], s[0:1]
	s_xor_b64 s[0:1], exec, s[14:15]
; %bb.122:
	v_min_i32_e32 v1, 15, v21
	v_lshl_or_b32 v1, v1, 3, v20
	v_and_or_b32 v6, v0, 7, v1
                                        ; implicit-def: $vgpr20
; %bb.123:
	s_andn2_saveexec_b64 s[0:1], s[0:1]
; %bb.124:
	v_mov_b32_e32 v6, v20
; %bb.125:
	s_or_b64 exec, exec, s[0:1]
.LBB12_126:
	s_or_b64 exec, exec, s[12:13]
.LBB12_127:
	s_andn2_saveexec_b64 s[0:1], s[10:11]
	s_or_b64 exec, exec, s[0:1]
                                        ; implicit-def: $vgpr21
                                        ; implicit-def: $vgpr0_vgpr1
.LBB12_128:
	s_andn2_saveexec_b64 s[0:1], s[8:9]
; %bb.129:
	s_movk_i32 s8, 0x7f
	v_or_b32_sdwa v20, v21, s8 dst_sel:DWORD dst_unused:UNUSED_PAD src0_sel:BYTE_3 src1_sel:DWORD
	v_cmp_eq_u64_e32 vcc, 0, v[0:1]
	v_cndmask_b32_e32 v6, v20, v6, vcc
; %bb.130:
	s_or_b64 exec, exec, s[0:1]
	v_mul_f32_e32 v0, v7, v23
	v_max_f32_e32 v0, 0xc3e00000, v0
	v_min_f32_e32 v21, 0x43e00000, v0
	v_mov_b32_e32 v1, 0
	s_movk_i32 s0, 0x80
	v_and_b32_sdwa v20, v21, s0 dst_sel:DWORD dst_unused:UNUSED_PAD src0_sel:BYTE_3 src1_sel:DWORD
	v_and_b32_e32 v26, 0x7f800000, v21
	v_mov_b32_e32 v27, v1
	s_mov_b64 s[0:1], 0x7f800000
	v_and_b32_e32 v0, 0x7fffff, v21
	v_or_b32_e32 v7, 0x7e, v20
	v_cmp_ne_u64_e32 vcc, s[0:1], v[26:27]
	s_and_saveexec_b64 s[0:1], vcc
	s_xor_b64 s[8:9], exec, s[0:1]
	s_cbranch_execz .LBB12_144
; %bb.131:
	v_and_b32_e32 v26, 0x7fffffff, v21
	v_mov_b32_e32 v27, v1
	s_mov_b64 s[0:1], 0x43e00001
	v_cmp_gt_u64_e32 vcc, s[0:1], v[26:27]
	s_and_saveexec_b64 s[0:1], vcc
	s_xor_b64 s[10:11], exec, s[0:1]
	s_cbranch_execz .LBB12_143
; %bb.132:
	v_cmp_ne_u32_e32 vcc, 0, v21
	v_mov_b32_e32 v7, 0
	s_and_saveexec_b64 s[12:13], vcc
	s_cbranch_execz .LBB12_142
; %bb.133:
	v_bfe_u32 v7, v21, 23, 8
	s_movk_i32 s0, 0x7a
	v_sub_u32_e32 v25, 0x79, v7
	v_cmp_gt_u32_e32 vcc, s0, v7
	v_add_u32_e32 v21, 0xffffff81, v7
	v_cndmask_b32_e32 v25, 0, v25, vcc
	v_mov_b32_e32 v27, 0xffffff82
	v_cmp_eq_u32_e32 vcc, 0, v7
	v_cndmask_b32_e32 v7, v21, v27, vcc
	v_mov_b32_e32 v21, 0x78
	v_cndmask_b32_e32 v21, v25, v21, vcc
	v_or_b32_e32 v26, 0x800000, v0
	v_add_u32_e32 v25, 20, v21
	v_cndmask_b32_e32 v0, v26, v0, vcc
	v_lshlrev_b64 v[26:27], v25, -1
	v_not_b32_e32 v25, v27
	v_not_b32_e32 v26, v26
	v_and_b32_e32 v27, 0, v25
	v_and_b32_e32 v26, v0, v26
	v_add_u32_e32 v25, 19, v21
	v_lshrrev_b64 v[0:1], v21, v[0:1]
	v_lshlrev_b64 v[28:29], v25, 1
	v_lshrrev_b32_e32 v25, 23, v0
	v_add3_u32 v25, v21, v7, v25
	v_bfe_u32 v21, v0, 20, 1
	v_add_u32_e32 v21, -1, v21
	v_cmp_eq_u64_e32 vcc, v[26:27], v[28:29]
	v_cndmask_b32_e32 v21, 0, v21, vcc
	v_add_u32_e32 v21, v21, v0
	v_and_b32_e32 v21, 0xfffff, v21
	v_add_co_u32_e32 v0, vcc, v21, v0
	v_add_u32_e32 v7, 6, v25
	v_addc_co_u32_e32 v1, vcc, 0, v1, vcc
	v_cmp_ne_u32_e32 vcc, 0, v7
                                        ; implicit-def: $vgpr21
	s_and_saveexec_b64 s[0:1], vcc
	s_xor_b64 s[0:1], exec, s[0:1]
; %bb.134:
	s_mov_b64 s[14:15], 0xffffff
	v_add_u32_e32 v21, 7, v25
	v_cmp_lt_u64_e32 vcc, s[14:15], v[0:1]
	v_cndmask_b32_e32 v21, v7, v21, vcc
	v_cndmask_b32_e64 v7, 0, 1, vcc
	v_lshrrev_b64 v[0:1], v7, v[0:1]
; %bb.135:
	s_andn2_saveexec_b64 s[0:1], s[0:1]
; %bb.136:
	v_bfe_u32 v21, v0, 23, 1
; %bb.137:
	s_or_b64 exec, exec, s[0:1]
	v_lshrrev_b64 v[0:1], 20, v[0:1]
	v_cmp_gt_i32_e32 vcc, 16, v21
	v_cndmask_b32_e32 v1, 0, v1, vcc
	v_cndmask_b32_e32 v0, 7, v0, vcc
	v_cmp_ne_u32_e32 vcc, 0, v21
	v_cmp_ne_u64_e64 s[0:1], 0, v[0:1]
	s_or_b64 s[0:1], vcc, s[0:1]
                                        ; implicit-def: $vgpr7
	s_and_saveexec_b64 s[14:15], s[0:1]
	s_xor_b64 s[0:1], exec, s[14:15]
; %bb.138:
	v_min_i32_e32 v1, 15, v21
	v_lshl_or_b32 v1, v1, 3, v20
	v_and_or_b32 v7, v0, 7, v1
                                        ; implicit-def: $vgpr20
; %bb.139:
	s_andn2_saveexec_b64 s[0:1], s[0:1]
; %bb.140:
	v_mov_b32_e32 v7, v20
; %bb.141:
	s_or_b64 exec, exec, s[0:1]
.LBB12_142:
	s_or_b64 exec, exec, s[12:13]
.LBB12_143:
	s_andn2_saveexec_b64 s[0:1], s[10:11]
	s_or_b64 exec, exec, s[0:1]
                                        ; implicit-def: $vgpr21
                                        ; implicit-def: $vgpr0_vgpr1
.LBB12_144:
	s_andn2_saveexec_b64 s[0:1], s[8:9]
; %bb.145:
	s_movk_i32 s8, 0x7f
	v_or_b32_sdwa v20, v21, s8 dst_sel:DWORD dst_unused:UNUSED_PAD src0_sel:BYTE_3 src1_sel:DWORD
	v_cmp_eq_u64_e32 vcc, 0, v[0:1]
	v_cndmask_b32_e32 v7, v20, v7, vcc
; %bb.146:
	s_or_b64 exec, exec, s[0:1]
	v_mul_f32_e32 v0, v8, v23
	v_max_f32_e32 v0, 0xc3e00000, v0
	v_min_f32_e32 v21, 0x43e00000, v0
	v_mov_b32_e32 v1, 0
	s_movk_i32 s0, 0x80
	v_and_b32_sdwa v20, v21, s0 dst_sel:DWORD dst_unused:UNUSED_PAD src0_sel:BYTE_3 src1_sel:DWORD
	v_and_b32_e32 v26, 0x7f800000, v21
	v_mov_b32_e32 v27, v1
	s_mov_b64 s[0:1], 0x7f800000
	v_and_b32_e32 v0, 0x7fffff, v21
	v_or_b32_e32 v8, 0x7e, v20
	v_cmp_ne_u64_e32 vcc, s[0:1], v[26:27]
	s_and_saveexec_b64 s[0:1], vcc
	s_xor_b64 s[8:9], exec, s[0:1]
	s_cbranch_execz .LBB12_160
; %bb.147:
	v_and_b32_e32 v26, 0x7fffffff, v21
	v_mov_b32_e32 v27, v1
	s_mov_b64 s[0:1], 0x43e00001
	v_cmp_gt_u64_e32 vcc, s[0:1], v[26:27]
	s_and_saveexec_b64 s[0:1], vcc
	s_xor_b64 s[10:11], exec, s[0:1]
	s_cbranch_execz .LBB12_159
; %bb.148:
	v_cmp_ne_u32_e32 vcc, 0, v21
	v_mov_b32_e32 v8, 0
	s_and_saveexec_b64 s[12:13], vcc
	s_cbranch_execz .LBB12_158
; %bb.149:
	v_bfe_u32 v8, v21, 23, 8
	s_movk_i32 s0, 0x7a
	v_sub_u32_e32 v25, 0x79, v8
	v_cmp_gt_u32_e32 vcc, s0, v8
	v_add_u32_e32 v21, 0xffffff81, v8
	v_cndmask_b32_e32 v25, 0, v25, vcc
	v_mov_b32_e32 v27, 0xffffff82
	v_cmp_eq_u32_e32 vcc, 0, v8
	v_cndmask_b32_e32 v8, v21, v27, vcc
	v_mov_b32_e32 v21, 0x78
	v_cndmask_b32_e32 v21, v25, v21, vcc
	v_or_b32_e32 v26, 0x800000, v0
	v_add_u32_e32 v25, 20, v21
	v_cndmask_b32_e32 v0, v26, v0, vcc
	v_lshlrev_b64 v[26:27], v25, -1
	v_not_b32_e32 v25, v27
	v_not_b32_e32 v26, v26
	v_and_b32_e32 v27, 0, v25
	v_and_b32_e32 v26, v0, v26
	v_add_u32_e32 v25, 19, v21
	v_lshrrev_b64 v[0:1], v21, v[0:1]
	v_lshlrev_b64 v[28:29], v25, 1
	v_lshrrev_b32_e32 v25, 23, v0
	v_add3_u32 v25, v21, v8, v25
	v_bfe_u32 v21, v0, 20, 1
	v_add_u32_e32 v21, -1, v21
	v_cmp_eq_u64_e32 vcc, v[26:27], v[28:29]
	v_cndmask_b32_e32 v21, 0, v21, vcc
	v_add_u32_e32 v21, v21, v0
	v_and_b32_e32 v21, 0xfffff, v21
	v_add_co_u32_e32 v0, vcc, v21, v0
	v_add_u32_e32 v8, 6, v25
	v_addc_co_u32_e32 v1, vcc, 0, v1, vcc
	v_cmp_ne_u32_e32 vcc, 0, v8
                                        ; implicit-def: $vgpr21
	s_and_saveexec_b64 s[0:1], vcc
	s_xor_b64 s[0:1], exec, s[0:1]
; %bb.150:
	s_mov_b64 s[14:15], 0xffffff
	v_add_u32_e32 v21, 7, v25
	v_cmp_lt_u64_e32 vcc, s[14:15], v[0:1]
	v_cndmask_b32_e32 v21, v8, v21, vcc
	v_cndmask_b32_e64 v8, 0, 1, vcc
	v_lshrrev_b64 v[0:1], v8, v[0:1]
; %bb.151:
	s_andn2_saveexec_b64 s[0:1], s[0:1]
; %bb.152:
	v_bfe_u32 v21, v0, 23, 1
; %bb.153:
	s_or_b64 exec, exec, s[0:1]
	v_lshrrev_b64 v[0:1], 20, v[0:1]
	v_cmp_gt_i32_e32 vcc, 16, v21
	v_cndmask_b32_e32 v1, 0, v1, vcc
	v_cndmask_b32_e32 v0, 7, v0, vcc
	v_cmp_ne_u32_e32 vcc, 0, v21
	v_cmp_ne_u64_e64 s[0:1], 0, v[0:1]
	s_or_b64 s[0:1], vcc, s[0:1]
                                        ; implicit-def: $vgpr8
	s_and_saveexec_b64 s[14:15], s[0:1]
	s_xor_b64 s[0:1], exec, s[14:15]
; %bb.154:
	v_min_i32_e32 v1, 15, v21
	v_lshl_or_b32 v1, v1, 3, v20
	v_and_or_b32 v8, v0, 7, v1
                                        ; implicit-def: $vgpr20
; %bb.155:
	s_andn2_saveexec_b64 s[0:1], s[0:1]
; %bb.156:
	v_mov_b32_e32 v8, v20
; %bb.157:
	s_or_b64 exec, exec, s[0:1]
.LBB12_158:
	s_or_b64 exec, exec, s[12:13]
.LBB12_159:
	s_andn2_saveexec_b64 s[0:1], s[10:11]
	s_or_b64 exec, exec, s[0:1]
                                        ; implicit-def: $vgpr21
                                        ; implicit-def: $vgpr0_vgpr1
.LBB12_160:
	s_andn2_saveexec_b64 s[0:1], s[8:9]
; %bb.161:
	s_movk_i32 s8, 0x7f
	v_or_b32_sdwa v20, v21, s8 dst_sel:DWORD dst_unused:UNUSED_PAD src0_sel:BYTE_3 src1_sel:DWORD
	v_cmp_eq_u64_e32 vcc, 0, v[0:1]
	v_cndmask_b32_e32 v8, v20, v8, vcc
; %bb.162:
	s_or_b64 exec, exec, s[0:1]
	v_mul_f32_e32 v0, v9, v23
	v_max_f32_e32 v0, 0xc3e00000, v0
	v_min_f32_e32 v21, 0x43e00000, v0
	v_mov_b32_e32 v1, 0
	s_movk_i32 s0, 0x80
	v_and_b32_sdwa v20, v21, s0 dst_sel:DWORD dst_unused:UNUSED_PAD src0_sel:BYTE_3 src1_sel:DWORD
	v_and_b32_e32 v26, 0x7f800000, v21
	v_mov_b32_e32 v27, v1
	s_mov_b64 s[0:1], 0x7f800000
	v_and_b32_e32 v0, 0x7fffff, v21
	v_or_b32_e32 v9, 0x7e, v20
	v_cmp_ne_u64_e32 vcc, s[0:1], v[26:27]
	s_and_saveexec_b64 s[0:1], vcc
	s_xor_b64 s[8:9], exec, s[0:1]
	s_cbranch_execz .LBB12_176
; %bb.163:
	v_and_b32_e32 v26, 0x7fffffff, v21
	v_mov_b32_e32 v27, v1
	s_mov_b64 s[0:1], 0x43e00001
	v_cmp_gt_u64_e32 vcc, s[0:1], v[26:27]
	s_and_saveexec_b64 s[0:1], vcc
	s_xor_b64 s[10:11], exec, s[0:1]
	s_cbranch_execz .LBB12_175
; %bb.164:
	v_cmp_ne_u32_e32 vcc, 0, v21
	v_mov_b32_e32 v9, 0
	s_and_saveexec_b64 s[12:13], vcc
	s_cbranch_execz .LBB12_174
; %bb.165:
	v_bfe_u32 v9, v21, 23, 8
	s_movk_i32 s0, 0x7a
	v_sub_u32_e32 v25, 0x79, v9
	v_cmp_gt_u32_e32 vcc, s0, v9
	v_add_u32_e32 v21, 0xffffff81, v9
	v_cndmask_b32_e32 v25, 0, v25, vcc
	v_mov_b32_e32 v27, 0xffffff82
	v_cmp_eq_u32_e32 vcc, 0, v9
	v_cndmask_b32_e32 v9, v21, v27, vcc
	v_mov_b32_e32 v21, 0x78
	v_cndmask_b32_e32 v21, v25, v21, vcc
	v_or_b32_e32 v26, 0x800000, v0
	v_add_u32_e32 v25, 20, v21
	v_cndmask_b32_e32 v0, v26, v0, vcc
	v_lshlrev_b64 v[26:27], v25, -1
	v_not_b32_e32 v25, v27
	v_not_b32_e32 v26, v26
	v_and_b32_e32 v27, 0, v25
	v_and_b32_e32 v26, v0, v26
	v_add_u32_e32 v25, 19, v21
	v_lshrrev_b64 v[0:1], v21, v[0:1]
	v_lshlrev_b64 v[28:29], v25, 1
	v_lshrrev_b32_e32 v25, 23, v0
	v_add3_u32 v25, v21, v9, v25
	v_bfe_u32 v21, v0, 20, 1
	v_add_u32_e32 v21, -1, v21
	v_cmp_eq_u64_e32 vcc, v[26:27], v[28:29]
	v_cndmask_b32_e32 v21, 0, v21, vcc
	v_add_u32_e32 v21, v21, v0
	v_and_b32_e32 v21, 0xfffff, v21
	v_add_co_u32_e32 v0, vcc, v21, v0
	v_add_u32_e32 v9, 6, v25
	v_addc_co_u32_e32 v1, vcc, 0, v1, vcc
	v_cmp_ne_u32_e32 vcc, 0, v9
                                        ; implicit-def: $vgpr21
	s_and_saveexec_b64 s[0:1], vcc
	s_xor_b64 s[0:1], exec, s[0:1]
; %bb.166:
	s_mov_b64 s[14:15], 0xffffff
	v_add_u32_e32 v21, 7, v25
	v_cmp_lt_u64_e32 vcc, s[14:15], v[0:1]
	v_cndmask_b32_e32 v21, v9, v21, vcc
	v_cndmask_b32_e64 v9, 0, 1, vcc
	v_lshrrev_b64 v[0:1], v9, v[0:1]
; %bb.167:
	s_andn2_saveexec_b64 s[0:1], s[0:1]
; %bb.168:
	v_bfe_u32 v21, v0, 23, 1
; %bb.169:
	s_or_b64 exec, exec, s[0:1]
	v_lshrrev_b64 v[0:1], 20, v[0:1]
	v_cmp_gt_i32_e32 vcc, 16, v21
	v_cndmask_b32_e32 v1, 0, v1, vcc
	v_cndmask_b32_e32 v0, 7, v0, vcc
	v_cmp_ne_u32_e32 vcc, 0, v21
	v_cmp_ne_u64_e64 s[0:1], 0, v[0:1]
	s_or_b64 s[0:1], vcc, s[0:1]
                                        ; implicit-def: $vgpr9
	s_and_saveexec_b64 s[14:15], s[0:1]
	s_xor_b64 s[0:1], exec, s[14:15]
; %bb.170:
	v_min_i32_e32 v1, 15, v21
	v_lshl_or_b32 v1, v1, 3, v20
	v_and_or_b32 v9, v0, 7, v1
                                        ; implicit-def: $vgpr20
; %bb.171:
	s_andn2_saveexec_b64 s[0:1], s[0:1]
; %bb.172:
	v_mov_b32_e32 v9, v20
; %bb.173:
	s_or_b64 exec, exec, s[0:1]
.LBB12_174:
	s_or_b64 exec, exec, s[12:13]
.LBB12_175:
	s_andn2_saveexec_b64 s[0:1], s[10:11]
	s_or_b64 exec, exec, s[0:1]
                                        ; implicit-def: $vgpr21
                                        ; implicit-def: $vgpr0_vgpr1
.LBB12_176:
	s_andn2_saveexec_b64 s[0:1], s[8:9]
; %bb.177:
	s_movk_i32 s8, 0x7f
	v_or_b32_sdwa v20, v21, s8 dst_sel:DWORD dst_unused:UNUSED_PAD src0_sel:BYTE_3 src1_sel:DWORD
	v_cmp_eq_u64_e32 vcc, 0, v[0:1]
	v_cndmask_b32_e32 v9, v20, v9, vcc
; %bb.178:
	s_or_b64 exec, exec, s[0:1]
	v_mul_f32_e32 v0, v10, v23
	v_max_f32_e32 v0, 0xc3e00000, v0
	v_min_f32_e32 v21, 0x43e00000, v0
	v_mov_b32_e32 v1, 0
	s_movk_i32 s0, 0x80
	v_and_b32_sdwa v20, v21, s0 dst_sel:DWORD dst_unused:UNUSED_PAD src0_sel:BYTE_3 src1_sel:DWORD
	v_and_b32_e32 v26, 0x7f800000, v21
	v_mov_b32_e32 v27, v1
	s_mov_b64 s[0:1], 0x7f800000
	v_and_b32_e32 v0, 0x7fffff, v21
	v_or_b32_e32 v10, 0x7e, v20
	v_cmp_ne_u64_e32 vcc, s[0:1], v[26:27]
	s_and_saveexec_b64 s[0:1], vcc
	s_xor_b64 s[8:9], exec, s[0:1]
	s_cbranch_execz .LBB12_192
; %bb.179:
	v_and_b32_e32 v26, 0x7fffffff, v21
	v_mov_b32_e32 v27, v1
	s_mov_b64 s[0:1], 0x43e00001
	v_cmp_gt_u64_e32 vcc, s[0:1], v[26:27]
	s_and_saveexec_b64 s[0:1], vcc
	s_xor_b64 s[10:11], exec, s[0:1]
	s_cbranch_execz .LBB12_191
; %bb.180:
	v_cmp_ne_u32_e32 vcc, 0, v21
	v_mov_b32_e32 v10, 0
	s_and_saveexec_b64 s[12:13], vcc
	s_cbranch_execz .LBB12_190
; %bb.181:
	v_bfe_u32 v10, v21, 23, 8
	s_movk_i32 s0, 0x7a
	v_sub_u32_e32 v25, 0x79, v10
	v_cmp_gt_u32_e32 vcc, s0, v10
	v_add_u32_e32 v21, 0xffffff81, v10
	v_cndmask_b32_e32 v25, 0, v25, vcc
	v_mov_b32_e32 v27, 0xffffff82
	v_cmp_eq_u32_e32 vcc, 0, v10
	v_cndmask_b32_e32 v10, v21, v27, vcc
	v_mov_b32_e32 v21, 0x78
	v_cndmask_b32_e32 v21, v25, v21, vcc
	v_or_b32_e32 v26, 0x800000, v0
	v_add_u32_e32 v25, 20, v21
	v_cndmask_b32_e32 v0, v26, v0, vcc
	v_lshlrev_b64 v[26:27], v25, -1
	v_not_b32_e32 v25, v27
	v_not_b32_e32 v26, v26
	v_and_b32_e32 v27, 0, v25
	v_and_b32_e32 v26, v0, v26
	v_add_u32_e32 v25, 19, v21
	v_lshrrev_b64 v[0:1], v21, v[0:1]
	v_lshlrev_b64 v[28:29], v25, 1
	v_lshrrev_b32_e32 v25, 23, v0
	v_add3_u32 v25, v21, v10, v25
	v_bfe_u32 v21, v0, 20, 1
	v_add_u32_e32 v21, -1, v21
	v_cmp_eq_u64_e32 vcc, v[26:27], v[28:29]
	v_cndmask_b32_e32 v21, 0, v21, vcc
	v_add_u32_e32 v21, v21, v0
	v_and_b32_e32 v21, 0xfffff, v21
	v_add_co_u32_e32 v0, vcc, v21, v0
	v_add_u32_e32 v10, 6, v25
	v_addc_co_u32_e32 v1, vcc, 0, v1, vcc
	v_cmp_ne_u32_e32 vcc, 0, v10
                                        ; implicit-def: $vgpr21
	s_and_saveexec_b64 s[0:1], vcc
	s_xor_b64 s[0:1], exec, s[0:1]
; %bb.182:
	s_mov_b64 s[14:15], 0xffffff
	v_add_u32_e32 v21, 7, v25
	v_cmp_lt_u64_e32 vcc, s[14:15], v[0:1]
	v_cndmask_b32_e32 v21, v10, v21, vcc
	v_cndmask_b32_e64 v10, 0, 1, vcc
	v_lshrrev_b64 v[0:1], v10, v[0:1]
; %bb.183:
	s_andn2_saveexec_b64 s[0:1], s[0:1]
; %bb.184:
	v_bfe_u32 v21, v0, 23, 1
; %bb.185:
	s_or_b64 exec, exec, s[0:1]
	v_lshrrev_b64 v[0:1], 20, v[0:1]
	v_cmp_gt_i32_e32 vcc, 16, v21
	v_cndmask_b32_e32 v1, 0, v1, vcc
	v_cndmask_b32_e32 v0, 7, v0, vcc
	v_cmp_ne_u32_e32 vcc, 0, v21
	v_cmp_ne_u64_e64 s[0:1], 0, v[0:1]
	s_or_b64 s[0:1], vcc, s[0:1]
                                        ; implicit-def: $vgpr10
	s_and_saveexec_b64 s[14:15], s[0:1]
	s_xor_b64 s[0:1], exec, s[14:15]
; %bb.186:
	v_min_i32_e32 v1, 15, v21
	v_lshl_or_b32 v1, v1, 3, v20
	v_and_or_b32 v10, v0, 7, v1
                                        ; implicit-def: $vgpr20
; %bb.187:
	s_andn2_saveexec_b64 s[0:1], s[0:1]
; %bb.188:
	v_mov_b32_e32 v10, v20
; %bb.189:
	s_or_b64 exec, exec, s[0:1]
.LBB12_190:
	s_or_b64 exec, exec, s[12:13]
.LBB12_191:
	s_andn2_saveexec_b64 s[0:1], s[10:11]
	s_or_b64 exec, exec, s[0:1]
                                        ; implicit-def: $vgpr21
                                        ; implicit-def: $vgpr0_vgpr1
.LBB12_192:
	s_andn2_saveexec_b64 s[0:1], s[8:9]
; %bb.193:
	s_movk_i32 s8, 0x7f
	v_or_b32_sdwa v20, v21, s8 dst_sel:DWORD dst_unused:UNUSED_PAD src0_sel:BYTE_3 src1_sel:DWORD
	v_cmp_eq_u64_e32 vcc, 0, v[0:1]
	v_cndmask_b32_e32 v10, v20, v10, vcc
; %bb.194:
	s_or_b64 exec, exec, s[0:1]
	v_mul_f32_e32 v0, v11, v23
	v_max_f32_e32 v0, 0xc3e00000, v0
	v_min_f32_e32 v21, 0x43e00000, v0
	v_mov_b32_e32 v1, 0
	s_movk_i32 s0, 0x80
	v_and_b32_sdwa v20, v21, s0 dst_sel:DWORD dst_unused:UNUSED_PAD src0_sel:BYTE_3 src1_sel:DWORD
	v_and_b32_e32 v26, 0x7f800000, v21
	v_mov_b32_e32 v27, v1
	s_mov_b64 s[0:1], 0x7f800000
	v_and_b32_e32 v0, 0x7fffff, v21
	v_or_b32_e32 v11, 0x7e, v20
	v_cmp_ne_u64_e32 vcc, s[0:1], v[26:27]
	s_and_saveexec_b64 s[0:1], vcc
	s_xor_b64 s[8:9], exec, s[0:1]
	s_cbranch_execz .LBB12_208
; %bb.195:
	v_and_b32_e32 v26, 0x7fffffff, v21
	v_mov_b32_e32 v27, v1
	s_mov_b64 s[0:1], 0x43e00001
	v_cmp_gt_u64_e32 vcc, s[0:1], v[26:27]
	s_and_saveexec_b64 s[0:1], vcc
	s_xor_b64 s[10:11], exec, s[0:1]
	s_cbranch_execz .LBB12_207
; %bb.196:
	v_cmp_ne_u32_e32 vcc, 0, v21
	v_mov_b32_e32 v11, 0
	s_and_saveexec_b64 s[12:13], vcc
	s_cbranch_execz .LBB12_206
; %bb.197:
	v_bfe_u32 v11, v21, 23, 8
	s_movk_i32 s0, 0x7a
	v_sub_u32_e32 v25, 0x79, v11
	v_cmp_gt_u32_e32 vcc, s0, v11
	v_add_u32_e32 v21, 0xffffff81, v11
	v_cndmask_b32_e32 v25, 0, v25, vcc
	v_mov_b32_e32 v27, 0xffffff82
	v_cmp_eq_u32_e32 vcc, 0, v11
	v_cndmask_b32_e32 v11, v21, v27, vcc
	v_mov_b32_e32 v21, 0x78
	v_cndmask_b32_e32 v21, v25, v21, vcc
	v_or_b32_e32 v26, 0x800000, v0
	v_add_u32_e32 v25, 20, v21
	v_cndmask_b32_e32 v0, v26, v0, vcc
	v_lshlrev_b64 v[26:27], v25, -1
	v_not_b32_e32 v25, v27
	v_not_b32_e32 v26, v26
	v_and_b32_e32 v27, 0, v25
	v_and_b32_e32 v26, v0, v26
	v_add_u32_e32 v25, 19, v21
	v_lshrrev_b64 v[0:1], v21, v[0:1]
	v_lshlrev_b64 v[28:29], v25, 1
	v_lshrrev_b32_e32 v25, 23, v0
	v_add3_u32 v25, v21, v11, v25
	v_bfe_u32 v21, v0, 20, 1
	v_add_u32_e32 v21, -1, v21
	v_cmp_eq_u64_e32 vcc, v[26:27], v[28:29]
	v_cndmask_b32_e32 v21, 0, v21, vcc
	v_add_u32_e32 v21, v21, v0
	v_and_b32_e32 v21, 0xfffff, v21
	v_add_co_u32_e32 v0, vcc, v21, v0
	v_add_u32_e32 v11, 6, v25
	v_addc_co_u32_e32 v1, vcc, 0, v1, vcc
	v_cmp_ne_u32_e32 vcc, 0, v11
                                        ; implicit-def: $vgpr21
	s_and_saveexec_b64 s[0:1], vcc
	s_xor_b64 s[0:1], exec, s[0:1]
; %bb.198:
	s_mov_b64 s[14:15], 0xffffff
	v_add_u32_e32 v21, 7, v25
	v_cmp_lt_u64_e32 vcc, s[14:15], v[0:1]
	v_cndmask_b32_e32 v21, v11, v21, vcc
	v_cndmask_b32_e64 v11, 0, 1, vcc
	v_lshrrev_b64 v[0:1], v11, v[0:1]
; %bb.199:
	s_andn2_saveexec_b64 s[0:1], s[0:1]
; %bb.200:
	v_bfe_u32 v21, v0, 23, 1
; %bb.201:
	s_or_b64 exec, exec, s[0:1]
	v_lshrrev_b64 v[0:1], 20, v[0:1]
	v_cmp_gt_i32_e32 vcc, 16, v21
	v_cndmask_b32_e32 v1, 0, v1, vcc
	v_cndmask_b32_e32 v0, 7, v0, vcc
	v_cmp_ne_u32_e32 vcc, 0, v21
	v_cmp_ne_u64_e64 s[0:1], 0, v[0:1]
	s_or_b64 s[0:1], vcc, s[0:1]
                                        ; implicit-def: $vgpr11
	s_and_saveexec_b64 s[14:15], s[0:1]
	s_xor_b64 s[0:1], exec, s[14:15]
; %bb.202:
	v_min_i32_e32 v1, 15, v21
	v_lshl_or_b32 v1, v1, 3, v20
	v_and_or_b32 v11, v0, 7, v1
                                        ; implicit-def: $vgpr20
; %bb.203:
	s_andn2_saveexec_b64 s[0:1], s[0:1]
; %bb.204:
	v_mov_b32_e32 v11, v20
; %bb.205:
	s_or_b64 exec, exec, s[0:1]
.LBB12_206:
	s_or_b64 exec, exec, s[12:13]
.LBB12_207:
	s_andn2_saveexec_b64 s[0:1], s[10:11]
	s_or_b64 exec, exec, s[0:1]
                                        ; implicit-def: $vgpr21
                                        ; implicit-def: $vgpr0_vgpr1
.LBB12_208:
	s_andn2_saveexec_b64 s[0:1], s[8:9]
; %bb.209:
	s_movk_i32 s8, 0x7f
	v_or_b32_sdwa v20, v21, s8 dst_sel:DWORD dst_unused:UNUSED_PAD src0_sel:BYTE_3 src1_sel:DWORD
	v_cmp_eq_u64_e32 vcc, 0, v[0:1]
	v_cndmask_b32_e32 v11, v20, v11, vcc
; %bb.210:
	s_or_b64 exec, exec, s[0:1]
	v_mul_f32_e32 v0, v12, v23
	v_max_f32_e32 v0, 0xc3e00000, v0
	v_min_f32_e32 v21, 0x43e00000, v0
	v_mov_b32_e32 v1, 0
	s_movk_i32 s0, 0x80
	v_and_b32_sdwa v20, v21, s0 dst_sel:DWORD dst_unused:UNUSED_PAD src0_sel:BYTE_3 src1_sel:DWORD
	v_and_b32_e32 v26, 0x7f800000, v21
	v_mov_b32_e32 v27, v1
	s_mov_b64 s[0:1], 0x7f800000
	v_and_b32_e32 v0, 0x7fffff, v21
	v_or_b32_e32 v12, 0x7e, v20
	v_cmp_ne_u64_e32 vcc, s[0:1], v[26:27]
	s_and_saveexec_b64 s[0:1], vcc
	s_xor_b64 s[8:9], exec, s[0:1]
	s_cbranch_execz .LBB12_224
; %bb.211:
	v_and_b32_e32 v26, 0x7fffffff, v21
	v_mov_b32_e32 v27, v1
	s_mov_b64 s[0:1], 0x43e00001
	v_cmp_gt_u64_e32 vcc, s[0:1], v[26:27]
	s_and_saveexec_b64 s[0:1], vcc
	s_xor_b64 s[10:11], exec, s[0:1]
	s_cbranch_execz .LBB12_223
; %bb.212:
	v_cmp_ne_u32_e32 vcc, 0, v21
	v_mov_b32_e32 v12, 0
	s_and_saveexec_b64 s[12:13], vcc
	s_cbranch_execz .LBB12_222
; %bb.213:
	v_bfe_u32 v12, v21, 23, 8
	s_movk_i32 s0, 0x7a
	v_sub_u32_e32 v25, 0x79, v12
	v_cmp_gt_u32_e32 vcc, s0, v12
	v_add_u32_e32 v21, 0xffffff81, v12
	v_cndmask_b32_e32 v25, 0, v25, vcc
	v_mov_b32_e32 v27, 0xffffff82
	v_cmp_eq_u32_e32 vcc, 0, v12
	v_cndmask_b32_e32 v12, v21, v27, vcc
	v_mov_b32_e32 v21, 0x78
	v_cndmask_b32_e32 v21, v25, v21, vcc
	v_or_b32_e32 v26, 0x800000, v0
	v_add_u32_e32 v25, 20, v21
	v_cndmask_b32_e32 v0, v26, v0, vcc
	v_lshlrev_b64 v[26:27], v25, -1
	v_not_b32_e32 v25, v27
	v_not_b32_e32 v26, v26
	v_and_b32_e32 v27, 0, v25
	v_and_b32_e32 v26, v0, v26
	v_add_u32_e32 v25, 19, v21
	v_lshrrev_b64 v[0:1], v21, v[0:1]
	v_lshlrev_b64 v[28:29], v25, 1
	v_lshrrev_b32_e32 v25, 23, v0
	v_add3_u32 v25, v21, v12, v25
	v_bfe_u32 v21, v0, 20, 1
	v_add_u32_e32 v21, -1, v21
	v_cmp_eq_u64_e32 vcc, v[26:27], v[28:29]
	v_cndmask_b32_e32 v21, 0, v21, vcc
	v_add_u32_e32 v21, v21, v0
	v_and_b32_e32 v21, 0xfffff, v21
	v_add_co_u32_e32 v0, vcc, v21, v0
	v_add_u32_e32 v12, 6, v25
	v_addc_co_u32_e32 v1, vcc, 0, v1, vcc
	v_cmp_ne_u32_e32 vcc, 0, v12
                                        ; implicit-def: $vgpr21
	s_and_saveexec_b64 s[0:1], vcc
	s_xor_b64 s[0:1], exec, s[0:1]
; %bb.214:
	s_mov_b64 s[14:15], 0xffffff
	v_add_u32_e32 v21, 7, v25
	v_cmp_lt_u64_e32 vcc, s[14:15], v[0:1]
	v_cndmask_b32_e32 v21, v12, v21, vcc
	v_cndmask_b32_e64 v12, 0, 1, vcc
	v_lshrrev_b64 v[0:1], v12, v[0:1]
; %bb.215:
	s_andn2_saveexec_b64 s[0:1], s[0:1]
; %bb.216:
	v_bfe_u32 v21, v0, 23, 1
; %bb.217:
	s_or_b64 exec, exec, s[0:1]
	v_lshrrev_b64 v[0:1], 20, v[0:1]
	v_cmp_gt_i32_e32 vcc, 16, v21
	v_cndmask_b32_e32 v1, 0, v1, vcc
	v_cndmask_b32_e32 v0, 7, v0, vcc
	v_cmp_ne_u32_e32 vcc, 0, v21
	v_cmp_ne_u64_e64 s[0:1], 0, v[0:1]
	s_or_b64 s[0:1], vcc, s[0:1]
                                        ; implicit-def: $vgpr12
	s_and_saveexec_b64 s[14:15], s[0:1]
	s_xor_b64 s[0:1], exec, s[14:15]
; %bb.218:
	v_min_i32_e32 v1, 15, v21
	v_lshl_or_b32 v1, v1, 3, v20
	v_and_or_b32 v12, v0, 7, v1
                                        ; implicit-def: $vgpr20
; %bb.219:
	s_andn2_saveexec_b64 s[0:1], s[0:1]
; %bb.220:
	v_mov_b32_e32 v12, v20
; %bb.221:
	s_or_b64 exec, exec, s[0:1]
.LBB12_222:
	s_or_b64 exec, exec, s[12:13]
.LBB12_223:
	s_andn2_saveexec_b64 s[0:1], s[10:11]
	s_or_b64 exec, exec, s[0:1]
                                        ; implicit-def: $vgpr21
                                        ; implicit-def: $vgpr0_vgpr1
.LBB12_224:
	s_andn2_saveexec_b64 s[0:1], s[8:9]
; %bb.225:
	s_movk_i32 s8, 0x7f
	v_or_b32_sdwa v20, v21, s8 dst_sel:DWORD dst_unused:UNUSED_PAD src0_sel:BYTE_3 src1_sel:DWORD
	v_cmp_eq_u64_e32 vcc, 0, v[0:1]
	v_cndmask_b32_e32 v12, v20, v12, vcc
; %bb.226:
	s_or_b64 exec, exec, s[0:1]
	v_mul_f32_e32 v0, v13, v23
	v_max_f32_e32 v0, 0xc3e00000, v0
	v_min_f32_e32 v21, 0x43e00000, v0
	v_mov_b32_e32 v1, 0
	s_movk_i32 s0, 0x80
	v_and_b32_sdwa v20, v21, s0 dst_sel:DWORD dst_unused:UNUSED_PAD src0_sel:BYTE_3 src1_sel:DWORD
	v_and_b32_e32 v26, 0x7f800000, v21
	v_mov_b32_e32 v27, v1
	s_mov_b64 s[0:1], 0x7f800000
	v_and_b32_e32 v0, 0x7fffff, v21
	v_or_b32_e32 v13, 0x7e, v20
	v_cmp_ne_u64_e32 vcc, s[0:1], v[26:27]
	s_and_saveexec_b64 s[0:1], vcc
	s_xor_b64 s[8:9], exec, s[0:1]
	s_cbranch_execz .LBB12_240
; %bb.227:
	v_and_b32_e32 v26, 0x7fffffff, v21
	v_mov_b32_e32 v27, v1
	s_mov_b64 s[0:1], 0x43e00001
	v_cmp_gt_u64_e32 vcc, s[0:1], v[26:27]
	s_and_saveexec_b64 s[0:1], vcc
	s_xor_b64 s[10:11], exec, s[0:1]
	s_cbranch_execz .LBB12_239
; %bb.228:
	v_cmp_ne_u32_e32 vcc, 0, v21
	v_mov_b32_e32 v13, 0
	s_and_saveexec_b64 s[12:13], vcc
	s_cbranch_execz .LBB12_238
; %bb.229:
	v_bfe_u32 v13, v21, 23, 8
	s_movk_i32 s0, 0x7a
	v_sub_u32_e32 v25, 0x79, v13
	v_cmp_gt_u32_e32 vcc, s0, v13
	v_add_u32_e32 v21, 0xffffff81, v13
	v_cndmask_b32_e32 v25, 0, v25, vcc
	v_mov_b32_e32 v27, 0xffffff82
	v_cmp_eq_u32_e32 vcc, 0, v13
	v_cndmask_b32_e32 v13, v21, v27, vcc
	v_mov_b32_e32 v21, 0x78
	v_cndmask_b32_e32 v21, v25, v21, vcc
	v_or_b32_e32 v26, 0x800000, v0
	v_add_u32_e32 v25, 20, v21
	v_cndmask_b32_e32 v0, v26, v0, vcc
	v_lshlrev_b64 v[26:27], v25, -1
	v_not_b32_e32 v25, v27
	v_not_b32_e32 v26, v26
	v_and_b32_e32 v27, 0, v25
	v_and_b32_e32 v26, v0, v26
	v_add_u32_e32 v25, 19, v21
	v_lshrrev_b64 v[0:1], v21, v[0:1]
	v_lshlrev_b64 v[28:29], v25, 1
	v_lshrrev_b32_e32 v25, 23, v0
	v_add3_u32 v25, v21, v13, v25
	v_bfe_u32 v21, v0, 20, 1
	v_add_u32_e32 v21, -1, v21
	v_cmp_eq_u64_e32 vcc, v[26:27], v[28:29]
	v_cndmask_b32_e32 v21, 0, v21, vcc
	v_add_u32_e32 v21, v21, v0
	v_and_b32_e32 v21, 0xfffff, v21
	v_add_co_u32_e32 v0, vcc, v21, v0
	v_add_u32_e32 v13, 6, v25
	v_addc_co_u32_e32 v1, vcc, 0, v1, vcc
	v_cmp_ne_u32_e32 vcc, 0, v13
                                        ; implicit-def: $vgpr21
	s_and_saveexec_b64 s[0:1], vcc
	s_xor_b64 s[0:1], exec, s[0:1]
; %bb.230:
	s_mov_b64 s[14:15], 0xffffff
	v_add_u32_e32 v21, 7, v25
	v_cmp_lt_u64_e32 vcc, s[14:15], v[0:1]
	v_cndmask_b32_e32 v21, v13, v21, vcc
	v_cndmask_b32_e64 v13, 0, 1, vcc
	v_lshrrev_b64 v[0:1], v13, v[0:1]
; %bb.231:
	s_andn2_saveexec_b64 s[0:1], s[0:1]
; %bb.232:
	v_bfe_u32 v21, v0, 23, 1
; %bb.233:
	s_or_b64 exec, exec, s[0:1]
	v_lshrrev_b64 v[0:1], 20, v[0:1]
	v_cmp_gt_i32_e32 vcc, 16, v21
	v_cndmask_b32_e32 v1, 0, v1, vcc
	v_cndmask_b32_e32 v0, 7, v0, vcc
	v_cmp_ne_u32_e32 vcc, 0, v21
	v_cmp_ne_u64_e64 s[0:1], 0, v[0:1]
	s_or_b64 s[0:1], vcc, s[0:1]
                                        ; implicit-def: $vgpr13
	s_and_saveexec_b64 s[14:15], s[0:1]
	s_xor_b64 s[0:1], exec, s[14:15]
; %bb.234:
	v_min_i32_e32 v1, 15, v21
	v_lshl_or_b32 v1, v1, 3, v20
	v_and_or_b32 v13, v0, 7, v1
                                        ; implicit-def: $vgpr20
; %bb.235:
	s_andn2_saveexec_b64 s[0:1], s[0:1]
; %bb.236:
	v_mov_b32_e32 v13, v20
; %bb.237:
	s_or_b64 exec, exec, s[0:1]
.LBB12_238:
	s_or_b64 exec, exec, s[12:13]
.LBB12_239:
	s_andn2_saveexec_b64 s[0:1], s[10:11]
	s_or_b64 exec, exec, s[0:1]
                                        ; implicit-def: $vgpr21
                                        ; implicit-def: $vgpr0_vgpr1
.LBB12_240:
	s_andn2_saveexec_b64 s[0:1], s[8:9]
; %bb.241:
	s_movk_i32 s8, 0x7f
	v_or_b32_sdwa v20, v21, s8 dst_sel:DWORD dst_unused:UNUSED_PAD src0_sel:BYTE_3 src1_sel:DWORD
	v_cmp_eq_u64_e32 vcc, 0, v[0:1]
	v_cndmask_b32_e32 v13, v20, v13, vcc
; %bb.242:
	s_or_b64 exec, exec, s[0:1]
	v_mul_f32_e32 v0, v14, v23
	v_max_f32_e32 v0, 0xc3e00000, v0
	v_min_f32_e32 v21, 0x43e00000, v0
	v_mov_b32_e32 v1, 0
	s_movk_i32 s0, 0x80
	v_and_b32_sdwa v20, v21, s0 dst_sel:DWORD dst_unused:UNUSED_PAD src0_sel:BYTE_3 src1_sel:DWORD
	v_and_b32_e32 v26, 0x7f800000, v21
	v_mov_b32_e32 v27, v1
	s_mov_b64 s[0:1], 0x7f800000
	v_and_b32_e32 v0, 0x7fffff, v21
	v_or_b32_e32 v14, 0x7e, v20
	v_cmp_ne_u64_e32 vcc, s[0:1], v[26:27]
	s_and_saveexec_b64 s[0:1], vcc
	s_xor_b64 s[8:9], exec, s[0:1]
	s_cbranch_execz .LBB12_256
; %bb.243:
	v_and_b32_e32 v26, 0x7fffffff, v21
	v_mov_b32_e32 v27, v1
	s_mov_b64 s[0:1], 0x43e00001
	v_cmp_gt_u64_e32 vcc, s[0:1], v[26:27]
	s_and_saveexec_b64 s[0:1], vcc
	s_xor_b64 s[10:11], exec, s[0:1]
	s_cbranch_execz .LBB12_255
; %bb.244:
	v_cmp_ne_u32_e32 vcc, 0, v21
	v_mov_b32_e32 v14, 0
	s_and_saveexec_b64 s[12:13], vcc
	s_cbranch_execz .LBB12_254
; %bb.245:
	v_bfe_u32 v14, v21, 23, 8
	s_movk_i32 s0, 0x7a
	v_sub_u32_e32 v25, 0x79, v14
	v_cmp_gt_u32_e32 vcc, s0, v14
	v_add_u32_e32 v21, 0xffffff81, v14
	v_cndmask_b32_e32 v25, 0, v25, vcc
	v_mov_b32_e32 v27, 0xffffff82
	v_cmp_eq_u32_e32 vcc, 0, v14
	v_cndmask_b32_e32 v14, v21, v27, vcc
	v_mov_b32_e32 v21, 0x78
	v_cndmask_b32_e32 v21, v25, v21, vcc
	v_or_b32_e32 v26, 0x800000, v0
	v_add_u32_e32 v25, 20, v21
	v_cndmask_b32_e32 v0, v26, v0, vcc
	v_lshlrev_b64 v[26:27], v25, -1
	v_not_b32_e32 v25, v27
	v_not_b32_e32 v26, v26
	v_and_b32_e32 v27, 0, v25
	v_and_b32_e32 v26, v0, v26
	v_add_u32_e32 v25, 19, v21
	v_lshrrev_b64 v[0:1], v21, v[0:1]
	v_lshlrev_b64 v[28:29], v25, 1
	v_lshrrev_b32_e32 v25, 23, v0
	v_add3_u32 v25, v21, v14, v25
	v_bfe_u32 v21, v0, 20, 1
	v_add_u32_e32 v21, -1, v21
	v_cmp_eq_u64_e32 vcc, v[26:27], v[28:29]
	v_cndmask_b32_e32 v21, 0, v21, vcc
	v_add_u32_e32 v21, v21, v0
	v_and_b32_e32 v21, 0xfffff, v21
	v_add_co_u32_e32 v0, vcc, v21, v0
	v_add_u32_e32 v14, 6, v25
	v_addc_co_u32_e32 v1, vcc, 0, v1, vcc
	v_cmp_ne_u32_e32 vcc, 0, v14
                                        ; implicit-def: $vgpr21
	s_and_saveexec_b64 s[0:1], vcc
	s_xor_b64 s[0:1], exec, s[0:1]
; %bb.246:
	s_mov_b64 s[14:15], 0xffffff
	v_add_u32_e32 v21, 7, v25
	v_cmp_lt_u64_e32 vcc, s[14:15], v[0:1]
	v_cndmask_b32_e32 v21, v14, v21, vcc
	v_cndmask_b32_e64 v14, 0, 1, vcc
	v_lshrrev_b64 v[0:1], v14, v[0:1]
; %bb.247:
	s_andn2_saveexec_b64 s[0:1], s[0:1]
; %bb.248:
	v_bfe_u32 v21, v0, 23, 1
; %bb.249:
	s_or_b64 exec, exec, s[0:1]
	v_lshrrev_b64 v[0:1], 20, v[0:1]
	v_cmp_gt_i32_e32 vcc, 16, v21
	v_cndmask_b32_e32 v1, 0, v1, vcc
	v_cndmask_b32_e32 v0, 7, v0, vcc
	v_cmp_ne_u32_e32 vcc, 0, v21
	v_cmp_ne_u64_e64 s[0:1], 0, v[0:1]
	s_or_b64 s[0:1], vcc, s[0:1]
                                        ; implicit-def: $vgpr14
	s_and_saveexec_b64 s[14:15], s[0:1]
	s_xor_b64 s[0:1], exec, s[14:15]
; %bb.250:
	v_min_i32_e32 v1, 15, v21
	v_lshl_or_b32 v1, v1, 3, v20
	v_and_or_b32 v14, v0, 7, v1
                                        ; implicit-def: $vgpr20
; %bb.251:
	s_andn2_saveexec_b64 s[0:1], s[0:1]
; %bb.252:
	v_mov_b32_e32 v14, v20
; %bb.253:
	s_or_b64 exec, exec, s[0:1]
.LBB12_254:
	s_or_b64 exec, exec, s[12:13]
.LBB12_255:
	s_andn2_saveexec_b64 s[0:1], s[10:11]
	s_or_b64 exec, exec, s[0:1]
                                        ; implicit-def: $vgpr21
                                        ; implicit-def: $vgpr0_vgpr1
.LBB12_256:
	s_andn2_saveexec_b64 s[0:1], s[8:9]
; %bb.257:
	s_movk_i32 s8, 0x7f
	v_or_b32_sdwa v20, v21, s8 dst_sel:DWORD dst_unused:UNUSED_PAD src0_sel:BYTE_3 src1_sel:DWORD
	v_cmp_eq_u64_e32 vcc, 0, v[0:1]
	v_cndmask_b32_e32 v14, v20, v14, vcc
; %bb.258:
	s_or_b64 exec, exec, s[0:1]
	s_load_dwordx2 s[8:9], s[4:5], 0x28
	v_mul_f32_e32 v0, v15, v23
	v_max_f32_e32 v0, 0xc3e00000, v0
	v_min_f32_e32 v20, 0x43e00000, v0
	v_mov_b32_e32 v1, 0
	s_movk_i32 s0, 0x80
	v_and_b32_sdwa v15, v20, s0 dst_sel:DWORD dst_unused:UNUSED_PAD src0_sel:BYTE_3 src1_sel:DWORD
	v_and_b32_e32 v26, 0x7f800000, v20
	v_mov_b32_e32 v27, v1
	s_mov_b64 s[0:1], 0x7f800000
	v_and_b32_e32 v0, 0x7fffff, v20
	v_or_b32_e32 v23, 0x7e, v15
	v_cmp_ne_u64_e32 vcc, s[0:1], v[26:27]
	s_and_saveexec_b64 s[0:1], vcc
	s_xor_b64 s[10:11], exec, s[0:1]
	s_cbranch_execz .LBB12_272
; %bb.259:
	v_and_b32_e32 v26, 0x7fffffff, v20
	v_mov_b32_e32 v27, v1
	s_mov_b64 s[0:1], 0x43e00001
	v_cmp_gt_u64_e32 vcc, s[0:1], v[26:27]
	s_and_saveexec_b64 s[0:1], vcc
	s_xor_b64 s[12:13], exec, s[0:1]
	s_cbranch_execz .LBB12_271
; %bb.260:
	v_cmp_ne_u32_e32 vcc, 0, v20
	v_mov_b32_e32 v23, 0
	s_and_saveexec_b64 s[14:15], vcc
	s_cbranch_execz .LBB12_270
; %bb.261:
	v_bfe_u32 v20, v20, 23, 8
	s_movk_i32 s0, 0x7a
	v_sub_u32_e32 v23, 0x79, v20
	v_cmp_gt_u32_e32 vcc, s0, v20
	v_add_u32_e32 v21, 0xffffff81, v20
	v_cndmask_b32_e32 v23, 0, v23, vcc
	v_cmp_eq_u32_e32 vcc, 0, v20
	v_mov_b32_e32 v20, 0x78
	v_cndmask_b32_e32 v23, v23, v20, vcc
	v_mov_b32_e32 v26, 0xffffff82
	v_add_u32_e32 v20, 20, v23
	v_or_b32_e32 v25, 0x800000, v0
	v_cndmask_b32_e32 v30, v21, v26, vcc
	v_lshlrev_b64 v[20:21], v20, -1
	v_cndmask_b32_e32 v0, v25, v0, vcc
	v_not_b32_e32 v20, v20
	v_and_b32_e32 v26, v0, v20
	v_add_u32_e32 v20, 19, v23
	v_lshrrev_b64 v[0:1], v23, v[0:1]
	v_not_b32_e32 v21, v21
	v_lshlrev_b64 v[28:29], v20, 1
	v_lshrrev_b32_e32 v20, 23, v0
	v_and_b32_e32 v27, 0, v21
	v_add3_u32 v23, v23, v30, v20
	v_bfe_u32 v20, v0, 20, 1
	v_add_u32_e32 v20, -1, v20
	v_cmp_eq_u64_e32 vcc, v[26:27], v[28:29]
	v_cndmask_b32_e32 v20, 0, v20, vcc
	v_add_u32_e32 v20, v20, v0
	v_and_b32_e32 v20, 0xfffff, v20
	v_add_co_u32_e32 v0, vcc, v20, v0
	v_add_u32_e32 v21, 6, v23
	v_addc_co_u32_e32 v1, vcc, 0, v1, vcc
	v_cmp_ne_u32_e32 vcc, 0, v21
                                        ; implicit-def: $vgpr20
	s_and_saveexec_b64 s[0:1], vcc
	s_xor_b64 s[0:1], exec, s[0:1]
; %bb.262:
	s_mov_b64 s[18:19], 0xffffff
	v_add_u32_e32 v20, 7, v23
	v_cmp_lt_u64_e32 vcc, s[18:19], v[0:1]
	v_cndmask_b32_e32 v20, v21, v20, vcc
	v_cndmask_b32_e64 v21, 0, 1, vcc
	v_lshrrev_b64 v[0:1], v21, v[0:1]
; %bb.263:
	s_andn2_saveexec_b64 s[0:1], s[0:1]
; %bb.264:
	v_bfe_u32 v20, v0, 23, 1
; %bb.265:
	s_or_b64 exec, exec, s[0:1]
	v_lshrrev_b64 v[0:1], 20, v[0:1]
	v_cmp_gt_i32_e32 vcc, 16, v20
	v_cndmask_b32_e32 v1, 0, v1, vcc
	v_cndmask_b32_e32 v0, 7, v0, vcc
	v_cmp_ne_u32_e32 vcc, 0, v20
	v_cmp_ne_u64_e64 s[0:1], 0, v[0:1]
	s_or_b64 s[0:1], vcc, s[0:1]
                                        ; implicit-def: $vgpr23
	s_and_saveexec_b64 s[18:19], s[0:1]
	s_xor_b64 s[0:1], exec, s[18:19]
; %bb.266:
	v_min_i32_e32 v1, 15, v20
	v_lshl_or_b32 v1, v1, 3, v15
	v_and_or_b32 v23, v0, 7, v1
                                        ; implicit-def: $vgpr15
; %bb.267:
	s_andn2_saveexec_b64 s[0:1], s[0:1]
; %bb.268:
	v_mov_b32_e32 v23, v15
; %bb.269:
	s_or_b64 exec, exec, s[0:1]
.LBB12_270:
	s_or_b64 exec, exec, s[14:15]
.LBB12_271:
	s_andn2_saveexec_b64 s[0:1], s[12:13]
	s_or_b64 exec, exec, s[0:1]
                                        ; implicit-def: $vgpr20
                                        ; implicit-def: $vgpr0_vgpr1
.LBB12_272:
	s_andn2_saveexec_b64 s[0:1], s[10:11]
; %bb.273:
	s_movk_i32 s10, 0x7f
	v_or_b32_sdwa v15, v20, s10 dst_sel:DWORD dst_unused:UNUSED_PAD src0_sel:BYTE_3 src1_sel:DWORD
	v_cmp_eq_u64_e32 vcc, 0, v[0:1]
	v_cndmask_b32_e32 v23, v15, v23, vcc
; %bb.274:
	s_or_b64 exec, exec, s[0:1]
	s_load_dwordx4 s[12:15], s[4:5], 0x70
	v_mul_lo_u32 v15, v19, s16
	v_mul_lo_u32 v20, v18, s17
	v_mad_u64_u32 v[0:1], s[10:11], v18, s16, 0
	v_add3_u32 v1, v1, v20, v15
	v_sub_co_u32_e32 v15, vcc, v16, v0
	v_subb_co_u32_e32 v16, vcc, v17, v1, vcc
	s_waitcnt lgkmcnt(0)
	v_pk_mov_b32 v[0:1], s[8:9], s[8:9] op_sel:[0,1]
	v_mad_u64_u32 v[0:1], s[8:9], v18, s12, v[0:1]
	v_mul_lo_u32 v17, v18, s13
	v_mul_lo_u32 v18, v19, s12
	v_add3_u32 v1, v18, v1, v17
	v_mad_u64_u32 v[20:21], s[8:9], v15, s14, v[0:1]
	v_mul_lo_u32 v0, v15, s15
	v_mul_lo_u32 v1, v16, s14
	v_add3_u32 v21, v1, v21, v0
	v_lshlrev_b16_e32 v0, 8, v24
	v_lshlrev_b16_e32 v1, 8, v3
	v_or_b32_sdwa v0, v22, v0 dst_sel:DWORD dst_unused:UNUSED_PAD src0_sel:BYTE_0 src1_sel:DWORD
	v_or_b32_sdwa v1, v2, v1 dst_sel:WORD_1 dst_unused:UNUSED_PAD src0_sel:BYTE_0 src1_sel:DWORD
	v_or_b32_sdwa v16, v0, v1 dst_sel:DWORD dst_unused:UNUSED_PAD src0_sel:WORD_0 src1_sel:DWORD
	v_lshlrev_b16_e32 v0, 8, v5
	v_lshlrev_b16_e32 v1, 8, v7
	v_or_b32_sdwa v0, v4, v0 dst_sel:DWORD dst_unused:UNUSED_PAD src0_sel:BYTE_0 src1_sel:DWORD
	v_or_b32_sdwa v1, v6, v1 dst_sel:WORD_1 dst_unused:UNUSED_PAD src0_sel:BYTE_0 src1_sel:DWORD
	v_or_b32_sdwa v17, v0, v1 dst_sel:DWORD dst_unused:UNUSED_PAD src0_sel:WORD_0 src1_sel:DWORD
	;; [unrolled: 5-line block ×3, first 2 shown]
	v_lshlrev_b16_e32 v0, 8, v13
	v_lshlrev_b16_e32 v1, 8, v23
	v_or_b32_sdwa v0, v12, v0 dst_sel:DWORD dst_unused:UNUSED_PAD src0_sel:BYTE_0 src1_sel:DWORD
	v_or_b32_sdwa v1, v14, v1 dst_sel:WORD_1 dst_unused:UNUSED_PAD src0_sel:BYTE_0 src1_sel:DWORD
	s_mov_b64 s[0:1], exec
	v_or_b32_sdwa v19, v0, v1 dst_sel:DWORD dst_unused:UNUSED_PAD src0_sel:WORD_0 src1_sel:DWORD
.LBB12_275:
	s_or_b64 exec, exec, s[6:7]
	s_and_b64 s[6:7], s[0:1], exec
                                        ; implicit-def: $vgpr32_vgpr33
                                        ; implicit-def: $vgpr34
                                        ; implicit-def: $vgpr0_vgpr1_vgpr2_vgpr3_vgpr4_vgpr5_vgpr6_vgpr7_vgpr8_vgpr9_vgpr10_vgpr11_vgpr12_vgpr13_vgpr14_vgpr15
	s_andn2_saveexec_b64 s[2:3], s[2:3]
	s_cbranch_execz .LBB12_10
.LBB12_276:
	s_load_dwordx2 s[0:1], s[4:5], 0x50
	v_mov_b32_e32 v17, 0
	s_movk_i32 s8, 0x80
	v_mov_b32_e32 v21, v17
	s_waitcnt lgkmcnt(0)
	s_load_dword s14, s[0:1], 0x0
	s_mov_b64 s[0:1], 0x7f800000
	s_waitcnt lgkmcnt(0)
	v_mul_f32_e32 v0, s14, v0
	v_max_f32_e32 v0, 0xc3e00000, v0
	v_min_f32_e32 v19, 0x43e00000, v0
	v_and_b32_sdwa v0, v19, s8 dst_sel:DWORD dst_unused:UNUSED_PAD src0_sel:BYTE_3 src1_sel:DWORD
	v_and_b32_e32 v20, 0x7f800000, v19
	v_and_b32_e32 v16, 0x7fffff, v19
	v_or_b32_e32 v18, 0x7e, v0
	v_cmp_ne_u64_e32 vcc, s[0:1], v[20:21]
	s_and_saveexec_b64 s[0:1], vcc
	s_xor_b64 s[8:9], exec, s[0:1]
	s_cbranch_execz .LBB12_290
; %bb.277:
	v_and_b32_e32 v20, 0x7fffffff, v19
	v_mov_b32_e32 v21, v17
	s_mov_b64 s[0:1], 0x43e00001
	v_cmp_gt_u64_e32 vcc, s[0:1], v[20:21]
	s_and_saveexec_b64 s[0:1], vcc
	s_xor_b64 s[10:11], exec, s[0:1]
	s_cbranch_execz .LBB12_289
; %bb.278:
	v_cmp_ne_u32_e32 vcc, 0, v19
	v_mov_b32_e32 v18, 0
	s_and_saveexec_b64 s[12:13], vcc
	s_cbranch_execz .LBB12_288
; %bb.279:
	v_bfe_u32 v18, v19, 23, 8
	s_movk_i32 s0, 0x7a
	v_sub_u32_e32 v20, 0x79, v18
	v_cmp_gt_u32_e32 vcc, s0, v18
	v_add_u32_e32 v19, 0xffffff81, v18
	v_cndmask_b32_e32 v20, 0, v20, vcc
	v_cmp_eq_u32_e32 vcc, 0, v18
	v_mov_b32_e32 v18, 0x78
	v_cndmask_b32_e32 v20, v20, v18, vcc
	v_mov_b32_e32 v22, 0xffffff82
	v_add_u32_e32 v18, 20, v20
	v_or_b32_e32 v21, 0x800000, v16
	v_cndmask_b32_e32 v26, v19, v22, vcc
	v_lshlrev_b64 v[18:19], v18, -1
	v_cndmask_b32_e32 v16, v21, v16, vcc
	v_not_b32_e32 v18, v18
	v_not_b32_e32 v19, v19
	v_and_b32_e32 v22, v16, v18
	v_add_u32_e32 v18, 19, v20
	v_lshrrev_b64 v[16:17], v20, v[16:17]
	v_and_b32_e32 v23, 0, v19
	v_lshlrev_b64 v[24:25], v18, 1
	v_bfe_u32 v19, v16, 20, 1
	v_add_u32_e32 v19, -1, v19
	v_cmp_eq_u64_e32 vcc, v[22:23], v[24:25]
	v_cndmask_b32_e32 v19, 0, v19, vcc
	v_add_u32_e32 v19, v19, v16
	v_lshrrev_b32_e32 v18, 23, v16
	v_and_b32_e32 v19, 0xfffff, v19
	v_add3_u32 v20, v20, v26, v18
	v_add_co_u32_e32 v16, vcc, v19, v16
	v_add_u32_e32 v18, 6, v20
	v_addc_co_u32_e32 v17, vcc, 0, v17, vcc
	v_cmp_ne_u32_e32 vcc, 0, v18
                                        ; implicit-def: $vgpr19
	s_and_saveexec_b64 s[0:1], vcc
	s_xor_b64 s[0:1], exec, s[0:1]
; %bb.280:
	s_mov_b64 s[16:17], 0xffffff
	v_add_u32_e32 v19, 7, v20
	v_cmp_lt_u64_e32 vcc, s[16:17], v[16:17]
	v_cndmask_b32_e32 v19, v18, v19, vcc
	v_cndmask_b32_e64 v18, 0, 1, vcc
	v_lshrrev_b64 v[16:17], v18, v[16:17]
; %bb.281:
	s_andn2_saveexec_b64 s[0:1], s[0:1]
; %bb.282:
	v_bfe_u32 v19, v16, 23, 1
; %bb.283:
	s_or_b64 exec, exec, s[0:1]
	v_lshrrev_b64 v[16:17], 20, v[16:17]
	v_cmp_gt_i32_e32 vcc, 16, v19
	v_cndmask_b32_e32 v17, 0, v17, vcc
	v_cndmask_b32_e32 v16, 7, v16, vcc
	v_cmp_ne_u32_e32 vcc, 0, v19
	v_cmp_ne_u64_e64 s[0:1], 0, v[16:17]
	s_or_b64 s[0:1], vcc, s[0:1]
                                        ; implicit-def: $vgpr18
	s_and_saveexec_b64 s[16:17], s[0:1]
	s_xor_b64 s[0:1], exec, s[16:17]
; %bb.284:
	v_min_i32_e32 v17, 15, v19
	v_lshl_or_b32 v0, v17, 3, v0
	v_and_or_b32 v18, v16, 7, v0
                                        ; implicit-def: $vgpr0
; %bb.285:
	s_andn2_saveexec_b64 s[0:1], s[0:1]
; %bb.286:
	v_mov_b32_e32 v18, v0
; %bb.287:
	s_or_b64 exec, exec, s[0:1]
.LBB12_288:
	s_or_b64 exec, exec, s[12:13]
.LBB12_289:
	s_andn2_saveexec_b64 s[0:1], s[10:11]
	s_or_b64 exec, exec, s[0:1]
                                        ; implicit-def: $vgpr19
                                        ; implicit-def: $vgpr16_vgpr17
.LBB12_290:
	s_andn2_saveexec_b64 s[0:1], s[8:9]
; %bb.291:
	s_movk_i32 s8, 0x7f
	v_or_b32_sdwa v0, v19, s8 dst_sel:DWORD dst_unused:UNUSED_PAD src0_sel:BYTE_3 src1_sel:DWORD
	v_cmp_eq_u64_e32 vcc, 0, v[16:17]
	v_cndmask_b32_e32 v18, v0, v18, vcc
; %bb.292:
	s_or_b64 exec, exec, s[0:1]
	v_mul_f32_e32 v0, s14, v1
	v_max_f32_e32 v0, 0xc3e00000, v0
	v_min_f32_e32 v19, 0x43e00000, v0
	v_mov_b32_e32 v1, 0
	s_movk_i32 s0, 0x80
	v_and_b32_sdwa v17, v19, s0 dst_sel:DWORD dst_unused:UNUSED_PAD src0_sel:BYTE_3 src1_sel:DWORD
	v_and_b32_e32 v20, 0x7f800000, v19
	v_mov_b32_e32 v21, v1
	s_mov_b64 s[0:1], 0x7f800000
	v_and_b32_e32 v0, 0x7fffff, v19
	v_or_b32_e32 v16, 0x7e, v17
	v_cmp_ne_u64_e32 vcc, s[0:1], v[20:21]
	s_and_saveexec_b64 s[0:1], vcc
	s_xor_b64 s[8:9], exec, s[0:1]
	s_cbranch_execz .LBB12_306
; %bb.293:
	v_and_b32_e32 v20, 0x7fffffff, v19
	v_mov_b32_e32 v21, v1
	s_mov_b64 s[0:1], 0x43e00001
	v_cmp_gt_u64_e32 vcc, s[0:1], v[20:21]
	s_and_saveexec_b64 s[0:1], vcc
	s_xor_b64 s[10:11], exec, s[0:1]
	s_cbranch_execz .LBB12_305
; %bb.294:
	v_cmp_ne_u32_e32 vcc, 0, v19
	v_mov_b32_e32 v16, 0
	s_and_saveexec_b64 s[12:13], vcc
	s_cbranch_execz .LBB12_304
; %bb.295:
	v_bfe_u32 v16, v19, 23, 8
	s_movk_i32 s0, 0x7a
	v_sub_u32_e32 v20, 0x79, v16
	v_cmp_gt_u32_e32 vcc, s0, v16
	v_add_u32_e32 v19, 0xffffff81, v16
	v_cndmask_b32_e32 v20, 0, v20, vcc
	v_mov_b32_e32 v22, 0xffffff82
	v_cmp_eq_u32_e32 vcc, 0, v16
	v_cndmask_b32_e32 v16, v19, v22, vcc
	v_mov_b32_e32 v19, 0x78
	v_cndmask_b32_e32 v19, v20, v19, vcc
	v_or_b32_e32 v21, 0x800000, v0
	v_add_u32_e32 v20, 20, v19
	v_cndmask_b32_e32 v0, v21, v0, vcc
	v_lshlrev_b64 v[20:21], v20, -1
	v_not_b32_e32 v20, v20
	v_and_b32_e32 v22, v0, v20
	v_add_u32_e32 v20, 19, v19
	v_lshrrev_b64 v[0:1], v19, v[0:1]
	v_not_b32_e32 v21, v21
	v_lshlrev_b64 v[24:25], v20, 1
	v_lshrrev_b32_e32 v20, 23, v0
	v_and_b32_e32 v23, 0, v21
	v_add3_u32 v20, v19, v16, v20
	v_bfe_u32 v19, v0, 20, 1
	v_add_u32_e32 v19, -1, v19
	v_cmp_eq_u64_e32 vcc, v[22:23], v[24:25]
	v_cndmask_b32_e32 v19, 0, v19, vcc
	v_add_u32_e32 v19, v19, v0
	v_and_b32_e32 v19, 0xfffff, v19
	v_add_co_u32_e32 v0, vcc, v19, v0
	v_add_u32_e32 v16, 6, v20
	v_addc_co_u32_e32 v1, vcc, 0, v1, vcc
	v_cmp_ne_u32_e32 vcc, 0, v16
                                        ; implicit-def: $vgpr19
	s_and_saveexec_b64 s[0:1], vcc
	s_xor_b64 s[0:1], exec, s[0:1]
; %bb.296:
	s_mov_b64 s[16:17], 0xffffff
	v_add_u32_e32 v19, 7, v20
	v_cmp_lt_u64_e32 vcc, s[16:17], v[0:1]
	v_cndmask_b32_e32 v19, v16, v19, vcc
	v_cndmask_b32_e64 v16, 0, 1, vcc
	v_lshrrev_b64 v[0:1], v16, v[0:1]
; %bb.297:
	s_andn2_saveexec_b64 s[0:1], s[0:1]
; %bb.298:
	v_bfe_u32 v19, v0, 23, 1
; %bb.299:
	s_or_b64 exec, exec, s[0:1]
	v_lshrrev_b64 v[0:1], 20, v[0:1]
	v_cmp_gt_i32_e32 vcc, 16, v19
	v_cndmask_b32_e32 v1, 0, v1, vcc
	v_cndmask_b32_e32 v0, 7, v0, vcc
	v_cmp_ne_u32_e32 vcc, 0, v19
	v_cmp_ne_u64_e64 s[0:1], 0, v[0:1]
	s_or_b64 s[0:1], vcc, s[0:1]
                                        ; implicit-def: $vgpr16
	s_and_saveexec_b64 s[16:17], s[0:1]
	s_xor_b64 s[0:1], exec, s[16:17]
; %bb.300:
	v_min_i32_e32 v1, 15, v19
	v_lshl_or_b32 v1, v1, 3, v17
	v_and_or_b32 v16, v0, 7, v1
                                        ; implicit-def: $vgpr17
; %bb.301:
	s_andn2_saveexec_b64 s[0:1], s[0:1]
; %bb.302:
	v_mov_b32_e32 v16, v17
; %bb.303:
	s_or_b64 exec, exec, s[0:1]
.LBB12_304:
	s_or_b64 exec, exec, s[12:13]
.LBB12_305:
	s_andn2_saveexec_b64 s[0:1], s[10:11]
	s_or_b64 exec, exec, s[0:1]
                                        ; implicit-def: $vgpr19
                                        ; implicit-def: $vgpr0_vgpr1
.LBB12_306:
	s_andn2_saveexec_b64 s[0:1], s[8:9]
; %bb.307:
	s_movk_i32 s8, 0x7f
	v_or_b32_sdwa v17, v19, s8 dst_sel:DWORD dst_unused:UNUSED_PAD src0_sel:BYTE_3 src1_sel:DWORD
	v_cmp_eq_u64_e32 vcc, 0, v[0:1]
	v_cndmask_b32_e32 v16, v17, v16, vcc
; %bb.308:
	s_or_b64 exec, exec, s[0:1]
	v_mul_f32_e32 v0, s14, v2
	v_max_f32_e32 v0, 0xc3e00000, v0
	v_min_f32_e32 v19, 0x43e00000, v0
	v_mov_b32_e32 v1, 0
	s_movk_i32 s0, 0x80
	v_and_b32_sdwa v17, v19, s0 dst_sel:DWORD dst_unused:UNUSED_PAD src0_sel:BYTE_3 src1_sel:DWORD
	v_and_b32_e32 v20, 0x7f800000, v19
	v_mov_b32_e32 v21, v1
	s_mov_b64 s[0:1], 0x7f800000
	v_and_b32_e32 v0, 0x7fffff, v19
	v_or_b32_e32 v2, 0x7e, v17
	v_cmp_ne_u64_e32 vcc, s[0:1], v[20:21]
	s_and_saveexec_b64 s[0:1], vcc
	s_xor_b64 s[8:9], exec, s[0:1]
	s_cbranch_execz .LBB12_322
; %bb.309:
	v_and_b32_e32 v20, 0x7fffffff, v19
	v_mov_b32_e32 v21, v1
	s_mov_b64 s[0:1], 0x43e00001
	v_cmp_gt_u64_e32 vcc, s[0:1], v[20:21]
	s_and_saveexec_b64 s[0:1], vcc
	s_xor_b64 s[10:11], exec, s[0:1]
	s_cbranch_execz .LBB12_321
; %bb.310:
	v_cmp_ne_u32_e32 vcc, 0, v19
	v_mov_b32_e32 v2, 0
	s_and_saveexec_b64 s[12:13], vcc
	s_cbranch_execz .LBB12_320
; %bb.311:
	v_bfe_u32 v2, v19, 23, 8
	s_movk_i32 s0, 0x7a
	v_sub_u32_e32 v20, 0x79, v2
	v_cmp_gt_u32_e32 vcc, s0, v2
	v_add_u32_e32 v19, 0xffffff81, v2
	v_cndmask_b32_e32 v20, 0, v20, vcc
	v_mov_b32_e32 v22, 0xffffff82
	v_cmp_eq_u32_e32 vcc, 0, v2
	v_cndmask_b32_e32 v2, v19, v22, vcc
	v_mov_b32_e32 v19, 0x78
	v_cndmask_b32_e32 v19, v20, v19, vcc
	v_or_b32_e32 v21, 0x800000, v0
	v_add_u32_e32 v20, 20, v19
	v_cndmask_b32_e32 v0, v21, v0, vcc
	v_lshlrev_b64 v[20:21], v20, -1
	v_not_b32_e32 v20, v20
	v_and_b32_e32 v22, v0, v20
	v_add_u32_e32 v20, 19, v19
	v_lshrrev_b64 v[0:1], v19, v[0:1]
	v_not_b32_e32 v21, v21
	v_lshlrev_b64 v[24:25], v20, 1
	v_lshrrev_b32_e32 v20, 23, v0
	v_and_b32_e32 v23, 0, v21
	v_add3_u32 v20, v19, v2, v20
	v_bfe_u32 v19, v0, 20, 1
	v_add_u32_e32 v19, -1, v19
	v_cmp_eq_u64_e32 vcc, v[22:23], v[24:25]
	v_cndmask_b32_e32 v19, 0, v19, vcc
	v_add_u32_e32 v19, v19, v0
	v_and_b32_e32 v19, 0xfffff, v19
	v_add_co_u32_e32 v0, vcc, v19, v0
	v_add_u32_e32 v2, 6, v20
	v_addc_co_u32_e32 v1, vcc, 0, v1, vcc
	v_cmp_ne_u32_e32 vcc, 0, v2
                                        ; implicit-def: $vgpr19
	s_and_saveexec_b64 s[0:1], vcc
	s_xor_b64 s[0:1], exec, s[0:1]
; %bb.312:
	s_mov_b64 s[16:17], 0xffffff
	v_add_u32_e32 v19, 7, v20
	v_cmp_lt_u64_e32 vcc, s[16:17], v[0:1]
	v_cndmask_b32_e32 v19, v2, v19, vcc
	v_cndmask_b32_e64 v2, 0, 1, vcc
	v_lshrrev_b64 v[0:1], v2, v[0:1]
; %bb.313:
	s_andn2_saveexec_b64 s[0:1], s[0:1]
; %bb.314:
	v_bfe_u32 v19, v0, 23, 1
; %bb.315:
	s_or_b64 exec, exec, s[0:1]
	v_lshrrev_b64 v[0:1], 20, v[0:1]
	v_cmp_gt_i32_e32 vcc, 16, v19
	v_cndmask_b32_e32 v1, 0, v1, vcc
	v_cndmask_b32_e32 v0, 7, v0, vcc
	v_cmp_ne_u32_e32 vcc, 0, v19
	v_cmp_ne_u64_e64 s[0:1], 0, v[0:1]
	s_or_b64 s[0:1], vcc, s[0:1]
                                        ; implicit-def: $vgpr2
	s_and_saveexec_b64 s[16:17], s[0:1]
	s_xor_b64 s[0:1], exec, s[16:17]
; %bb.316:
	v_min_i32_e32 v1, 15, v19
	v_lshl_or_b32 v1, v1, 3, v17
	v_and_or_b32 v2, v0, 7, v1
                                        ; implicit-def: $vgpr17
; %bb.317:
	s_andn2_saveexec_b64 s[0:1], s[0:1]
; %bb.318:
	v_mov_b32_e32 v2, v17
; %bb.319:
	s_or_b64 exec, exec, s[0:1]
.LBB12_320:
	s_or_b64 exec, exec, s[12:13]
.LBB12_321:
	s_andn2_saveexec_b64 s[0:1], s[10:11]
	s_or_b64 exec, exec, s[0:1]
                                        ; implicit-def: $vgpr19
                                        ; implicit-def: $vgpr0_vgpr1
.LBB12_322:
	s_andn2_saveexec_b64 s[0:1], s[8:9]
; %bb.323:
	s_movk_i32 s8, 0x7f
	v_or_b32_sdwa v17, v19, s8 dst_sel:DWORD dst_unused:UNUSED_PAD src0_sel:BYTE_3 src1_sel:DWORD
	v_cmp_eq_u64_e32 vcc, 0, v[0:1]
	v_cndmask_b32_e32 v2, v17, v2, vcc
; %bb.324:
	s_or_b64 exec, exec, s[0:1]
	v_mul_f32_e32 v0, s14, v3
	v_max_f32_e32 v0, 0xc3e00000, v0
	v_min_f32_e32 v19, 0x43e00000, v0
	v_mov_b32_e32 v1, 0
	s_movk_i32 s0, 0x80
	v_and_b32_sdwa v17, v19, s0 dst_sel:DWORD dst_unused:UNUSED_PAD src0_sel:BYTE_3 src1_sel:DWORD
	v_and_b32_e32 v20, 0x7f800000, v19
	v_mov_b32_e32 v21, v1
	s_mov_b64 s[0:1], 0x7f800000
	v_and_b32_e32 v0, 0x7fffff, v19
	v_or_b32_e32 v3, 0x7e, v17
	v_cmp_ne_u64_e32 vcc, s[0:1], v[20:21]
	s_and_saveexec_b64 s[0:1], vcc
	s_xor_b64 s[8:9], exec, s[0:1]
	s_cbranch_execz .LBB12_338
; %bb.325:
	v_and_b32_e32 v20, 0x7fffffff, v19
	v_mov_b32_e32 v21, v1
	s_mov_b64 s[0:1], 0x43e00001
	v_cmp_gt_u64_e32 vcc, s[0:1], v[20:21]
	s_and_saveexec_b64 s[0:1], vcc
	s_xor_b64 s[10:11], exec, s[0:1]
	s_cbranch_execz .LBB12_337
; %bb.326:
	v_cmp_ne_u32_e32 vcc, 0, v19
	v_mov_b32_e32 v3, 0
	s_and_saveexec_b64 s[12:13], vcc
	s_cbranch_execz .LBB12_336
; %bb.327:
	v_bfe_u32 v3, v19, 23, 8
	s_movk_i32 s0, 0x7a
	v_sub_u32_e32 v20, 0x79, v3
	v_cmp_gt_u32_e32 vcc, s0, v3
	v_add_u32_e32 v19, 0xffffff81, v3
	v_cndmask_b32_e32 v20, 0, v20, vcc
	v_mov_b32_e32 v22, 0xffffff82
	v_cmp_eq_u32_e32 vcc, 0, v3
	v_cndmask_b32_e32 v3, v19, v22, vcc
	v_mov_b32_e32 v19, 0x78
	v_cndmask_b32_e32 v19, v20, v19, vcc
	v_or_b32_e32 v21, 0x800000, v0
	v_add_u32_e32 v20, 20, v19
	v_cndmask_b32_e32 v0, v21, v0, vcc
	v_lshlrev_b64 v[20:21], v20, -1
	v_not_b32_e32 v20, v20
	v_and_b32_e32 v22, v0, v20
	v_add_u32_e32 v20, 19, v19
	v_lshrrev_b64 v[0:1], v19, v[0:1]
	v_not_b32_e32 v21, v21
	v_lshlrev_b64 v[24:25], v20, 1
	v_lshrrev_b32_e32 v20, 23, v0
	v_and_b32_e32 v23, 0, v21
	v_add3_u32 v20, v19, v3, v20
	v_bfe_u32 v19, v0, 20, 1
	v_add_u32_e32 v19, -1, v19
	v_cmp_eq_u64_e32 vcc, v[22:23], v[24:25]
	v_cndmask_b32_e32 v19, 0, v19, vcc
	v_add_u32_e32 v19, v19, v0
	v_and_b32_e32 v19, 0xfffff, v19
	v_add_co_u32_e32 v0, vcc, v19, v0
	v_add_u32_e32 v3, 6, v20
	v_addc_co_u32_e32 v1, vcc, 0, v1, vcc
	v_cmp_ne_u32_e32 vcc, 0, v3
                                        ; implicit-def: $vgpr19
	s_and_saveexec_b64 s[0:1], vcc
	s_xor_b64 s[0:1], exec, s[0:1]
; %bb.328:
	s_mov_b64 s[16:17], 0xffffff
	v_add_u32_e32 v19, 7, v20
	v_cmp_lt_u64_e32 vcc, s[16:17], v[0:1]
	v_cndmask_b32_e32 v19, v3, v19, vcc
	v_cndmask_b32_e64 v3, 0, 1, vcc
	v_lshrrev_b64 v[0:1], v3, v[0:1]
; %bb.329:
	s_andn2_saveexec_b64 s[0:1], s[0:1]
; %bb.330:
	v_bfe_u32 v19, v0, 23, 1
; %bb.331:
	s_or_b64 exec, exec, s[0:1]
	v_lshrrev_b64 v[0:1], 20, v[0:1]
	v_cmp_gt_i32_e32 vcc, 16, v19
	v_cndmask_b32_e32 v1, 0, v1, vcc
	v_cndmask_b32_e32 v0, 7, v0, vcc
	v_cmp_ne_u32_e32 vcc, 0, v19
	v_cmp_ne_u64_e64 s[0:1], 0, v[0:1]
	s_or_b64 s[0:1], vcc, s[0:1]
                                        ; implicit-def: $vgpr3
	s_and_saveexec_b64 s[16:17], s[0:1]
	s_xor_b64 s[0:1], exec, s[16:17]
; %bb.332:
	v_min_i32_e32 v1, 15, v19
	v_lshl_or_b32 v1, v1, 3, v17
	v_and_or_b32 v3, v0, 7, v1
                                        ; implicit-def: $vgpr17
; %bb.333:
	s_andn2_saveexec_b64 s[0:1], s[0:1]
; %bb.334:
	v_mov_b32_e32 v3, v17
; %bb.335:
	s_or_b64 exec, exec, s[0:1]
.LBB12_336:
	s_or_b64 exec, exec, s[12:13]
.LBB12_337:
	s_andn2_saveexec_b64 s[0:1], s[10:11]
	s_or_b64 exec, exec, s[0:1]
                                        ; implicit-def: $vgpr19
                                        ; implicit-def: $vgpr0_vgpr1
.LBB12_338:
	s_andn2_saveexec_b64 s[0:1], s[8:9]
; %bb.339:
	s_movk_i32 s8, 0x7f
	v_or_b32_sdwa v17, v19, s8 dst_sel:DWORD dst_unused:UNUSED_PAD src0_sel:BYTE_3 src1_sel:DWORD
	v_cmp_eq_u64_e32 vcc, 0, v[0:1]
	v_cndmask_b32_e32 v3, v17, v3, vcc
; %bb.340:
	s_or_b64 exec, exec, s[0:1]
	v_mul_f32_e32 v0, s14, v4
	v_max_f32_e32 v0, 0xc3e00000, v0
	v_min_f32_e32 v19, 0x43e00000, v0
	v_mov_b32_e32 v1, 0
	s_movk_i32 s0, 0x80
	v_and_b32_sdwa v17, v19, s0 dst_sel:DWORD dst_unused:UNUSED_PAD src0_sel:BYTE_3 src1_sel:DWORD
	v_and_b32_e32 v20, 0x7f800000, v19
	v_mov_b32_e32 v21, v1
	s_mov_b64 s[0:1], 0x7f800000
	v_and_b32_e32 v0, 0x7fffff, v19
	v_or_b32_e32 v4, 0x7e, v17
	v_cmp_ne_u64_e32 vcc, s[0:1], v[20:21]
	s_and_saveexec_b64 s[0:1], vcc
	s_xor_b64 s[8:9], exec, s[0:1]
	s_cbranch_execz .LBB12_354
; %bb.341:
	v_and_b32_e32 v20, 0x7fffffff, v19
	v_mov_b32_e32 v21, v1
	s_mov_b64 s[0:1], 0x43e00001
	v_cmp_gt_u64_e32 vcc, s[0:1], v[20:21]
	s_and_saveexec_b64 s[0:1], vcc
	s_xor_b64 s[10:11], exec, s[0:1]
	s_cbranch_execz .LBB12_353
; %bb.342:
	v_cmp_ne_u32_e32 vcc, 0, v19
	v_mov_b32_e32 v4, 0
	s_and_saveexec_b64 s[12:13], vcc
	s_cbranch_execz .LBB12_352
; %bb.343:
	v_bfe_u32 v4, v19, 23, 8
	s_movk_i32 s0, 0x7a
	v_sub_u32_e32 v20, 0x79, v4
	v_cmp_gt_u32_e32 vcc, s0, v4
	v_add_u32_e32 v19, 0xffffff81, v4
	v_cndmask_b32_e32 v20, 0, v20, vcc
	v_mov_b32_e32 v22, 0xffffff82
	v_cmp_eq_u32_e32 vcc, 0, v4
	v_cndmask_b32_e32 v4, v19, v22, vcc
	v_mov_b32_e32 v19, 0x78
	v_cndmask_b32_e32 v19, v20, v19, vcc
	v_or_b32_e32 v21, 0x800000, v0
	v_add_u32_e32 v20, 20, v19
	v_cndmask_b32_e32 v0, v21, v0, vcc
	v_lshlrev_b64 v[20:21], v20, -1
	v_not_b32_e32 v20, v20
	v_and_b32_e32 v22, v0, v20
	v_add_u32_e32 v20, 19, v19
	v_lshrrev_b64 v[0:1], v19, v[0:1]
	v_not_b32_e32 v21, v21
	v_lshlrev_b64 v[24:25], v20, 1
	v_lshrrev_b32_e32 v20, 23, v0
	v_and_b32_e32 v23, 0, v21
	v_add3_u32 v20, v19, v4, v20
	v_bfe_u32 v19, v0, 20, 1
	v_add_u32_e32 v19, -1, v19
	v_cmp_eq_u64_e32 vcc, v[22:23], v[24:25]
	v_cndmask_b32_e32 v19, 0, v19, vcc
	v_add_u32_e32 v19, v19, v0
	v_and_b32_e32 v19, 0xfffff, v19
	v_add_co_u32_e32 v0, vcc, v19, v0
	v_add_u32_e32 v4, 6, v20
	v_addc_co_u32_e32 v1, vcc, 0, v1, vcc
	v_cmp_ne_u32_e32 vcc, 0, v4
                                        ; implicit-def: $vgpr19
	s_and_saveexec_b64 s[0:1], vcc
	s_xor_b64 s[0:1], exec, s[0:1]
; %bb.344:
	s_mov_b64 s[16:17], 0xffffff
	v_add_u32_e32 v19, 7, v20
	v_cmp_lt_u64_e32 vcc, s[16:17], v[0:1]
	v_cndmask_b32_e32 v19, v4, v19, vcc
	v_cndmask_b32_e64 v4, 0, 1, vcc
	v_lshrrev_b64 v[0:1], v4, v[0:1]
; %bb.345:
	s_andn2_saveexec_b64 s[0:1], s[0:1]
; %bb.346:
	v_bfe_u32 v19, v0, 23, 1
; %bb.347:
	s_or_b64 exec, exec, s[0:1]
	v_lshrrev_b64 v[0:1], 20, v[0:1]
	v_cmp_gt_i32_e32 vcc, 16, v19
	v_cndmask_b32_e32 v1, 0, v1, vcc
	v_cndmask_b32_e32 v0, 7, v0, vcc
	v_cmp_ne_u32_e32 vcc, 0, v19
	v_cmp_ne_u64_e64 s[0:1], 0, v[0:1]
	s_or_b64 s[0:1], vcc, s[0:1]
                                        ; implicit-def: $vgpr4
	s_and_saveexec_b64 s[16:17], s[0:1]
	s_xor_b64 s[0:1], exec, s[16:17]
; %bb.348:
	v_min_i32_e32 v1, 15, v19
	v_lshl_or_b32 v1, v1, 3, v17
	v_and_or_b32 v4, v0, 7, v1
                                        ; implicit-def: $vgpr17
; %bb.349:
	s_andn2_saveexec_b64 s[0:1], s[0:1]
; %bb.350:
	v_mov_b32_e32 v4, v17
; %bb.351:
	s_or_b64 exec, exec, s[0:1]
.LBB12_352:
	s_or_b64 exec, exec, s[12:13]
.LBB12_353:
	s_andn2_saveexec_b64 s[0:1], s[10:11]
	s_or_b64 exec, exec, s[0:1]
                                        ; implicit-def: $vgpr19
                                        ; implicit-def: $vgpr0_vgpr1
.LBB12_354:
	s_andn2_saveexec_b64 s[0:1], s[8:9]
; %bb.355:
	s_movk_i32 s8, 0x7f
	v_or_b32_sdwa v17, v19, s8 dst_sel:DWORD dst_unused:UNUSED_PAD src0_sel:BYTE_3 src1_sel:DWORD
	v_cmp_eq_u64_e32 vcc, 0, v[0:1]
	v_cndmask_b32_e32 v4, v17, v4, vcc
; %bb.356:
	s_or_b64 exec, exec, s[0:1]
	v_mul_f32_e32 v0, s14, v5
	v_max_f32_e32 v0, 0xc3e00000, v0
	v_min_f32_e32 v19, 0x43e00000, v0
	v_mov_b32_e32 v1, 0
	s_movk_i32 s0, 0x80
	v_and_b32_sdwa v17, v19, s0 dst_sel:DWORD dst_unused:UNUSED_PAD src0_sel:BYTE_3 src1_sel:DWORD
	v_and_b32_e32 v20, 0x7f800000, v19
	v_mov_b32_e32 v21, v1
	s_mov_b64 s[0:1], 0x7f800000
	v_and_b32_e32 v0, 0x7fffff, v19
	v_or_b32_e32 v5, 0x7e, v17
	v_cmp_ne_u64_e32 vcc, s[0:1], v[20:21]
	s_and_saveexec_b64 s[0:1], vcc
	s_xor_b64 s[8:9], exec, s[0:1]
	s_cbranch_execz .LBB12_370
; %bb.357:
	v_and_b32_e32 v20, 0x7fffffff, v19
	v_mov_b32_e32 v21, v1
	s_mov_b64 s[0:1], 0x43e00001
	v_cmp_gt_u64_e32 vcc, s[0:1], v[20:21]
	s_and_saveexec_b64 s[0:1], vcc
	s_xor_b64 s[10:11], exec, s[0:1]
	s_cbranch_execz .LBB12_369
; %bb.358:
	v_cmp_ne_u32_e32 vcc, 0, v19
	v_mov_b32_e32 v5, 0
	s_and_saveexec_b64 s[12:13], vcc
	s_cbranch_execz .LBB12_368
; %bb.359:
	v_bfe_u32 v5, v19, 23, 8
	s_movk_i32 s0, 0x7a
	v_sub_u32_e32 v20, 0x79, v5
	v_cmp_gt_u32_e32 vcc, s0, v5
	v_add_u32_e32 v19, 0xffffff81, v5
	v_cndmask_b32_e32 v20, 0, v20, vcc
	v_mov_b32_e32 v22, 0xffffff82
	v_cmp_eq_u32_e32 vcc, 0, v5
	v_cndmask_b32_e32 v5, v19, v22, vcc
	v_mov_b32_e32 v19, 0x78
	v_cndmask_b32_e32 v19, v20, v19, vcc
	v_or_b32_e32 v21, 0x800000, v0
	v_add_u32_e32 v20, 20, v19
	v_cndmask_b32_e32 v0, v21, v0, vcc
	v_lshlrev_b64 v[20:21], v20, -1
	v_not_b32_e32 v20, v20
	v_and_b32_e32 v22, v0, v20
	v_add_u32_e32 v20, 19, v19
	v_lshrrev_b64 v[0:1], v19, v[0:1]
	v_not_b32_e32 v21, v21
	v_lshlrev_b64 v[24:25], v20, 1
	v_lshrrev_b32_e32 v20, 23, v0
	v_and_b32_e32 v23, 0, v21
	v_add3_u32 v20, v19, v5, v20
	v_bfe_u32 v19, v0, 20, 1
	v_add_u32_e32 v19, -1, v19
	v_cmp_eq_u64_e32 vcc, v[22:23], v[24:25]
	v_cndmask_b32_e32 v19, 0, v19, vcc
	v_add_u32_e32 v19, v19, v0
	v_and_b32_e32 v19, 0xfffff, v19
	v_add_co_u32_e32 v0, vcc, v19, v0
	v_add_u32_e32 v5, 6, v20
	v_addc_co_u32_e32 v1, vcc, 0, v1, vcc
	v_cmp_ne_u32_e32 vcc, 0, v5
                                        ; implicit-def: $vgpr19
	s_and_saveexec_b64 s[0:1], vcc
	s_xor_b64 s[0:1], exec, s[0:1]
; %bb.360:
	s_mov_b64 s[16:17], 0xffffff
	v_add_u32_e32 v19, 7, v20
	v_cmp_lt_u64_e32 vcc, s[16:17], v[0:1]
	v_cndmask_b32_e32 v19, v5, v19, vcc
	v_cndmask_b32_e64 v5, 0, 1, vcc
	v_lshrrev_b64 v[0:1], v5, v[0:1]
; %bb.361:
	s_andn2_saveexec_b64 s[0:1], s[0:1]
; %bb.362:
	v_bfe_u32 v19, v0, 23, 1
; %bb.363:
	s_or_b64 exec, exec, s[0:1]
	v_lshrrev_b64 v[0:1], 20, v[0:1]
	v_cmp_gt_i32_e32 vcc, 16, v19
	v_cndmask_b32_e32 v1, 0, v1, vcc
	v_cndmask_b32_e32 v0, 7, v0, vcc
	v_cmp_ne_u32_e32 vcc, 0, v19
	v_cmp_ne_u64_e64 s[0:1], 0, v[0:1]
	s_or_b64 s[0:1], vcc, s[0:1]
                                        ; implicit-def: $vgpr5
	s_and_saveexec_b64 s[16:17], s[0:1]
	s_xor_b64 s[0:1], exec, s[16:17]
; %bb.364:
	v_min_i32_e32 v1, 15, v19
	v_lshl_or_b32 v1, v1, 3, v17
	v_and_or_b32 v5, v0, 7, v1
                                        ; implicit-def: $vgpr17
; %bb.365:
	s_andn2_saveexec_b64 s[0:1], s[0:1]
; %bb.366:
	v_mov_b32_e32 v5, v17
; %bb.367:
	s_or_b64 exec, exec, s[0:1]
.LBB12_368:
	s_or_b64 exec, exec, s[12:13]
.LBB12_369:
	s_andn2_saveexec_b64 s[0:1], s[10:11]
	s_or_b64 exec, exec, s[0:1]
                                        ; implicit-def: $vgpr19
                                        ; implicit-def: $vgpr0_vgpr1
.LBB12_370:
	s_andn2_saveexec_b64 s[0:1], s[8:9]
; %bb.371:
	s_movk_i32 s8, 0x7f
	v_or_b32_sdwa v17, v19, s8 dst_sel:DWORD dst_unused:UNUSED_PAD src0_sel:BYTE_3 src1_sel:DWORD
	v_cmp_eq_u64_e32 vcc, 0, v[0:1]
	v_cndmask_b32_e32 v5, v17, v5, vcc
; %bb.372:
	s_or_b64 exec, exec, s[0:1]
	v_mul_f32_e32 v0, s14, v6
	v_max_f32_e32 v0, 0xc3e00000, v0
	v_min_f32_e32 v19, 0x43e00000, v0
	v_mov_b32_e32 v1, 0
	s_movk_i32 s0, 0x80
	v_and_b32_sdwa v17, v19, s0 dst_sel:DWORD dst_unused:UNUSED_PAD src0_sel:BYTE_3 src1_sel:DWORD
	v_and_b32_e32 v20, 0x7f800000, v19
	v_mov_b32_e32 v21, v1
	s_mov_b64 s[0:1], 0x7f800000
	v_and_b32_e32 v0, 0x7fffff, v19
	v_or_b32_e32 v6, 0x7e, v17
	v_cmp_ne_u64_e32 vcc, s[0:1], v[20:21]
	s_and_saveexec_b64 s[0:1], vcc
	s_xor_b64 s[8:9], exec, s[0:1]
	s_cbranch_execz .LBB12_386
; %bb.373:
	v_and_b32_e32 v20, 0x7fffffff, v19
	v_mov_b32_e32 v21, v1
	s_mov_b64 s[0:1], 0x43e00001
	v_cmp_gt_u64_e32 vcc, s[0:1], v[20:21]
	s_and_saveexec_b64 s[0:1], vcc
	s_xor_b64 s[10:11], exec, s[0:1]
	s_cbranch_execz .LBB12_385
; %bb.374:
	v_cmp_ne_u32_e32 vcc, 0, v19
	v_mov_b32_e32 v6, 0
	s_and_saveexec_b64 s[12:13], vcc
	s_cbranch_execz .LBB12_384
; %bb.375:
	v_bfe_u32 v6, v19, 23, 8
	s_movk_i32 s0, 0x7a
	v_sub_u32_e32 v20, 0x79, v6
	v_cmp_gt_u32_e32 vcc, s0, v6
	v_add_u32_e32 v19, 0xffffff81, v6
	v_cndmask_b32_e32 v20, 0, v20, vcc
	v_mov_b32_e32 v22, 0xffffff82
	v_cmp_eq_u32_e32 vcc, 0, v6
	v_cndmask_b32_e32 v6, v19, v22, vcc
	v_mov_b32_e32 v19, 0x78
	v_cndmask_b32_e32 v19, v20, v19, vcc
	v_or_b32_e32 v21, 0x800000, v0
	v_add_u32_e32 v20, 20, v19
	v_cndmask_b32_e32 v0, v21, v0, vcc
	v_lshlrev_b64 v[20:21], v20, -1
	v_not_b32_e32 v20, v20
	v_and_b32_e32 v22, v0, v20
	v_add_u32_e32 v20, 19, v19
	v_lshrrev_b64 v[0:1], v19, v[0:1]
	v_not_b32_e32 v21, v21
	v_lshlrev_b64 v[24:25], v20, 1
	v_lshrrev_b32_e32 v20, 23, v0
	v_and_b32_e32 v23, 0, v21
	v_add3_u32 v20, v19, v6, v20
	v_bfe_u32 v19, v0, 20, 1
	v_add_u32_e32 v19, -1, v19
	v_cmp_eq_u64_e32 vcc, v[22:23], v[24:25]
	v_cndmask_b32_e32 v19, 0, v19, vcc
	v_add_u32_e32 v19, v19, v0
	v_and_b32_e32 v19, 0xfffff, v19
	v_add_co_u32_e32 v0, vcc, v19, v0
	v_add_u32_e32 v6, 6, v20
	v_addc_co_u32_e32 v1, vcc, 0, v1, vcc
	v_cmp_ne_u32_e32 vcc, 0, v6
                                        ; implicit-def: $vgpr19
	s_and_saveexec_b64 s[0:1], vcc
	s_xor_b64 s[0:1], exec, s[0:1]
; %bb.376:
	s_mov_b64 s[16:17], 0xffffff
	v_add_u32_e32 v19, 7, v20
	v_cmp_lt_u64_e32 vcc, s[16:17], v[0:1]
	v_cndmask_b32_e32 v19, v6, v19, vcc
	v_cndmask_b32_e64 v6, 0, 1, vcc
	v_lshrrev_b64 v[0:1], v6, v[0:1]
; %bb.377:
	s_andn2_saveexec_b64 s[0:1], s[0:1]
; %bb.378:
	v_bfe_u32 v19, v0, 23, 1
; %bb.379:
	s_or_b64 exec, exec, s[0:1]
	v_lshrrev_b64 v[0:1], 20, v[0:1]
	v_cmp_gt_i32_e32 vcc, 16, v19
	v_cndmask_b32_e32 v1, 0, v1, vcc
	v_cndmask_b32_e32 v0, 7, v0, vcc
	v_cmp_ne_u32_e32 vcc, 0, v19
	v_cmp_ne_u64_e64 s[0:1], 0, v[0:1]
	s_or_b64 s[0:1], vcc, s[0:1]
                                        ; implicit-def: $vgpr6
	s_and_saveexec_b64 s[16:17], s[0:1]
	s_xor_b64 s[0:1], exec, s[16:17]
; %bb.380:
	v_min_i32_e32 v1, 15, v19
	v_lshl_or_b32 v1, v1, 3, v17
	v_and_or_b32 v6, v0, 7, v1
                                        ; implicit-def: $vgpr17
; %bb.381:
	s_andn2_saveexec_b64 s[0:1], s[0:1]
; %bb.382:
	v_mov_b32_e32 v6, v17
; %bb.383:
	s_or_b64 exec, exec, s[0:1]
.LBB12_384:
	s_or_b64 exec, exec, s[12:13]
.LBB12_385:
	s_andn2_saveexec_b64 s[0:1], s[10:11]
	s_or_b64 exec, exec, s[0:1]
                                        ; implicit-def: $vgpr19
                                        ; implicit-def: $vgpr0_vgpr1
.LBB12_386:
	s_andn2_saveexec_b64 s[0:1], s[8:9]
; %bb.387:
	s_movk_i32 s8, 0x7f
	v_or_b32_sdwa v17, v19, s8 dst_sel:DWORD dst_unused:UNUSED_PAD src0_sel:BYTE_3 src1_sel:DWORD
	v_cmp_eq_u64_e32 vcc, 0, v[0:1]
	v_cndmask_b32_e32 v6, v17, v6, vcc
; %bb.388:
	s_or_b64 exec, exec, s[0:1]
	v_mul_f32_e32 v0, s14, v7
	v_max_f32_e32 v0, 0xc3e00000, v0
	v_min_f32_e32 v19, 0x43e00000, v0
	v_mov_b32_e32 v1, 0
	s_movk_i32 s0, 0x80
	v_and_b32_sdwa v17, v19, s0 dst_sel:DWORD dst_unused:UNUSED_PAD src0_sel:BYTE_3 src1_sel:DWORD
	v_and_b32_e32 v20, 0x7f800000, v19
	v_mov_b32_e32 v21, v1
	s_mov_b64 s[0:1], 0x7f800000
	v_and_b32_e32 v0, 0x7fffff, v19
	v_or_b32_e32 v7, 0x7e, v17
	v_cmp_ne_u64_e32 vcc, s[0:1], v[20:21]
	s_and_saveexec_b64 s[0:1], vcc
	s_xor_b64 s[8:9], exec, s[0:1]
	s_cbranch_execz .LBB12_402
; %bb.389:
	v_and_b32_e32 v20, 0x7fffffff, v19
	v_mov_b32_e32 v21, v1
	s_mov_b64 s[0:1], 0x43e00001
	v_cmp_gt_u64_e32 vcc, s[0:1], v[20:21]
	s_and_saveexec_b64 s[0:1], vcc
	s_xor_b64 s[10:11], exec, s[0:1]
	s_cbranch_execz .LBB12_401
; %bb.390:
	v_cmp_ne_u32_e32 vcc, 0, v19
	v_mov_b32_e32 v7, 0
	s_and_saveexec_b64 s[12:13], vcc
	s_cbranch_execz .LBB12_400
; %bb.391:
	v_bfe_u32 v7, v19, 23, 8
	s_movk_i32 s0, 0x7a
	v_sub_u32_e32 v20, 0x79, v7
	v_cmp_gt_u32_e32 vcc, s0, v7
	v_add_u32_e32 v19, 0xffffff81, v7
	v_cndmask_b32_e32 v20, 0, v20, vcc
	v_mov_b32_e32 v22, 0xffffff82
	v_cmp_eq_u32_e32 vcc, 0, v7
	v_cndmask_b32_e32 v7, v19, v22, vcc
	v_mov_b32_e32 v19, 0x78
	v_cndmask_b32_e32 v19, v20, v19, vcc
	v_or_b32_e32 v21, 0x800000, v0
	v_add_u32_e32 v20, 20, v19
	v_cndmask_b32_e32 v0, v21, v0, vcc
	v_lshlrev_b64 v[20:21], v20, -1
	v_not_b32_e32 v20, v20
	v_and_b32_e32 v22, v0, v20
	v_add_u32_e32 v20, 19, v19
	v_lshrrev_b64 v[0:1], v19, v[0:1]
	v_not_b32_e32 v21, v21
	v_lshlrev_b64 v[24:25], v20, 1
	v_lshrrev_b32_e32 v20, 23, v0
	v_and_b32_e32 v23, 0, v21
	v_add3_u32 v20, v19, v7, v20
	v_bfe_u32 v19, v0, 20, 1
	v_add_u32_e32 v19, -1, v19
	v_cmp_eq_u64_e32 vcc, v[22:23], v[24:25]
	v_cndmask_b32_e32 v19, 0, v19, vcc
	v_add_u32_e32 v19, v19, v0
	v_and_b32_e32 v19, 0xfffff, v19
	v_add_co_u32_e32 v0, vcc, v19, v0
	v_add_u32_e32 v7, 6, v20
	v_addc_co_u32_e32 v1, vcc, 0, v1, vcc
	v_cmp_ne_u32_e32 vcc, 0, v7
                                        ; implicit-def: $vgpr19
	s_and_saveexec_b64 s[0:1], vcc
	s_xor_b64 s[0:1], exec, s[0:1]
; %bb.392:
	s_mov_b64 s[16:17], 0xffffff
	v_add_u32_e32 v19, 7, v20
	v_cmp_lt_u64_e32 vcc, s[16:17], v[0:1]
	v_cndmask_b32_e32 v19, v7, v19, vcc
	v_cndmask_b32_e64 v7, 0, 1, vcc
	v_lshrrev_b64 v[0:1], v7, v[0:1]
; %bb.393:
	s_andn2_saveexec_b64 s[0:1], s[0:1]
; %bb.394:
	v_bfe_u32 v19, v0, 23, 1
; %bb.395:
	s_or_b64 exec, exec, s[0:1]
	v_lshrrev_b64 v[0:1], 20, v[0:1]
	v_cmp_gt_i32_e32 vcc, 16, v19
	v_cndmask_b32_e32 v1, 0, v1, vcc
	v_cndmask_b32_e32 v0, 7, v0, vcc
	v_cmp_ne_u32_e32 vcc, 0, v19
	v_cmp_ne_u64_e64 s[0:1], 0, v[0:1]
	s_or_b64 s[0:1], vcc, s[0:1]
                                        ; implicit-def: $vgpr7
	s_and_saveexec_b64 s[16:17], s[0:1]
	s_xor_b64 s[0:1], exec, s[16:17]
; %bb.396:
	v_min_i32_e32 v1, 15, v19
	v_lshl_or_b32 v1, v1, 3, v17
	v_and_or_b32 v7, v0, 7, v1
                                        ; implicit-def: $vgpr17
; %bb.397:
	s_andn2_saveexec_b64 s[0:1], s[0:1]
; %bb.398:
	v_mov_b32_e32 v7, v17
; %bb.399:
	s_or_b64 exec, exec, s[0:1]
.LBB12_400:
	s_or_b64 exec, exec, s[12:13]
.LBB12_401:
	s_andn2_saveexec_b64 s[0:1], s[10:11]
	s_or_b64 exec, exec, s[0:1]
                                        ; implicit-def: $vgpr19
                                        ; implicit-def: $vgpr0_vgpr1
.LBB12_402:
	s_andn2_saveexec_b64 s[0:1], s[8:9]
; %bb.403:
	s_movk_i32 s8, 0x7f
	v_or_b32_sdwa v17, v19, s8 dst_sel:DWORD dst_unused:UNUSED_PAD src0_sel:BYTE_3 src1_sel:DWORD
	v_cmp_eq_u64_e32 vcc, 0, v[0:1]
	v_cndmask_b32_e32 v7, v17, v7, vcc
; %bb.404:
	s_or_b64 exec, exec, s[0:1]
	v_mul_f32_e32 v0, s14, v8
	v_max_f32_e32 v0, 0xc3e00000, v0
	v_min_f32_e32 v19, 0x43e00000, v0
	v_mov_b32_e32 v1, 0
	s_movk_i32 s0, 0x80
	v_and_b32_sdwa v17, v19, s0 dst_sel:DWORD dst_unused:UNUSED_PAD src0_sel:BYTE_3 src1_sel:DWORD
	v_and_b32_e32 v20, 0x7f800000, v19
	v_mov_b32_e32 v21, v1
	s_mov_b64 s[0:1], 0x7f800000
	v_and_b32_e32 v0, 0x7fffff, v19
	v_or_b32_e32 v8, 0x7e, v17
	v_cmp_ne_u64_e32 vcc, s[0:1], v[20:21]
	s_and_saveexec_b64 s[0:1], vcc
	s_xor_b64 s[8:9], exec, s[0:1]
	s_cbranch_execz .LBB12_418
; %bb.405:
	v_and_b32_e32 v20, 0x7fffffff, v19
	v_mov_b32_e32 v21, v1
	s_mov_b64 s[0:1], 0x43e00001
	v_cmp_gt_u64_e32 vcc, s[0:1], v[20:21]
	s_and_saveexec_b64 s[0:1], vcc
	s_xor_b64 s[10:11], exec, s[0:1]
	s_cbranch_execz .LBB12_417
; %bb.406:
	v_cmp_ne_u32_e32 vcc, 0, v19
	v_mov_b32_e32 v8, 0
	s_and_saveexec_b64 s[12:13], vcc
	s_cbranch_execz .LBB12_416
; %bb.407:
	v_bfe_u32 v8, v19, 23, 8
	s_movk_i32 s0, 0x7a
	v_sub_u32_e32 v20, 0x79, v8
	v_cmp_gt_u32_e32 vcc, s0, v8
	v_add_u32_e32 v19, 0xffffff81, v8
	v_cndmask_b32_e32 v20, 0, v20, vcc
	v_mov_b32_e32 v22, 0xffffff82
	v_cmp_eq_u32_e32 vcc, 0, v8
	v_cndmask_b32_e32 v8, v19, v22, vcc
	v_mov_b32_e32 v19, 0x78
	v_cndmask_b32_e32 v19, v20, v19, vcc
	v_or_b32_e32 v21, 0x800000, v0
	v_add_u32_e32 v20, 20, v19
	v_cndmask_b32_e32 v0, v21, v0, vcc
	v_lshlrev_b64 v[20:21], v20, -1
	v_not_b32_e32 v20, v20
	v_and_b32_e32 v22, v0, v20
	v_add_u32_e32 v20, 19, v19
	v_lshrrev_b64 v[0:1], v19, v[0:1]
	v_not_b32_e32 v21, v21
	v_lshlrev_b64 v[24:25], v20, 1
	v_lshrrev_b32_e32 v20, 23, v0
	v_and_b32_e32 v23, 0, v21
	v_add3_u32 v20, v19, v8, v20
	v_bfe_u32 v19, v0, 20, 1
	v_add_u32_e32 v19, -1, v19
	v_cmp_eq_u64_e32 vcc, v[22:23], v[24:25]
	v_cndmask_b32_e32 v19, 0, v19, vcc
	v_add_u32_e32 v19, v19, v0
	v_and_b32_e32 v19, 0xfffff, v19
	v_add_co_u32_e32 v0, vcc, v19, v0
	v_add_u32_e32 v8, 6, v20
	v_addc_co_u32_e32 v1, vcc, 0, v1, vcc
	v_cmp_ne_u32_e32 vcc, 0, v8
                                        ; implicit-def: $vgpr19
	s_and_saveexec_b64 s[0:1], vcc
	s_xor_b64 s[0:1], exec, s[0:1]
; %bb.408:
	s_mov_b64 s[16:17], 0xffffff
	v_add_u32_e32 v19, 7, v20
	v_cmp_lt_u64_e32 vcc, s[16:17], v[0:1]
	v_cndmask_b32_e32 v19, v8, v19, vcc
	v_cndmask_b32_e64 v8, 0, 1, vcc
	v_lshrrev_b64 v[0:1], v8, v[0:1]
; %bb.409:
	s_andn2_saveexec_b64 s[0:1], s[0:1]
; %bb.410:
	v_bfe_u32 v19, v0, 23, 1
; %bb.411:
	s_or_b64 exec, exec, s[0:1]
	v_lshrrev_b64 v[0:1], 20, v[0:1]
	v_cmp_gt_i32_e32 vcc, 16, v19
	v_cndmask_b32_e32 v1, 0, v1, vcc
	v_cndmask_b32_e32 v0, 7, v0, vcc
	v_cmp_ne_u32_e32 vcc, 0, v19
	v_cmp_ne_u64_e64 s[0:1], 0, v[0:1]
	s_or_b64 s[0:1], vcc, s[0:1]
                                        ; implicit-def: $vgpr8
	s_and_saveexec_b64 s[16:17], s[0:1]
	s_xor_b64 s[0:1], exec, s[16:17]
; %bb.412:
	v_min_i32_e32 v1, 15, v19
	v_lshl_or_b32 v1, v1, 3, v17
	v_and_or_b32 v8, v0, 7, v1
                                        ; implicit-def: $vgpr17
; %bb.413:
	s_andn2_saveexec_b64 s[0:1], s[0:1]
; %bb.414:
	v_mov_b32_e32 v8, v17
; %bb.415:
	s_or_b64 exec, exec, s[0:1]
.LBB12_416:
	s_or_b64 exec, exec, s[12:13]
.LBB12_417:
	s_andn2_saveexec_b64 s[0:1], s[10:11]
	s_or_b64 exec, exec, s[0:1]
                                        ; implicit-def: $vgpr19
                                        ; implicit-def: $vgpr0_vgpr1
.LBB12_418:
	s_andn2_saveexec_b64 s[0:1], s[8:9]
; %bb.419:
	s_movk_i32 s8, 0x7f
	v_or_b32_sdwa v17, v19, s8 dst_sel:DWORD dst_unused:UNUSED_PAD src0_sel:BYTE_3 src1_sel:DWORD
	v_cmp_eq_u64_e32 vcc, 0, v[0:1]
	v_cndmask_b32_e32 v8, v17, v8, vcc
; %bb.420:
	s_or_b64 exec, exec, s[0:1]
	v_mul_f32_e32 v0, s14, v9
	v_max_f32_e32 v0, 0xc3e00000, v0
	v_min_f32_e32 v19, 0x43e00000, v0
	v_mov_b32_e32 v1, 0
	s_movk_i32 s0, 0x80
	v_and_b32_sdwa v17, v19, s0 dst_sel:DWORD dst_unused:UNUSED_PAD src0_sel:BYTE_3 src1_sel:DWORD
	v_and_b32_e32 v20, 0x7f800000, v19
	v_mov_b32_e32 v21, v1
	s_mov_b64 s[0:1], 0x7f800000
	v_and_b32_e32 v0, 0x7fffff, v19
	v_or_b32_e32 v9, 0x7e, v17
	v_cmp_ne_u64_e32 vcc, s[0:1], v[20:21]
	s_and_saveexec_b64 s[0:1], vcc
	s_xor_b64 s[8:9], exec, s[0:1]
	s_cbranch_execz .LBB12_434
; %bb.421:
	v_and_b32_e32 v20, 0x7fffffff, v19
	v_mov_b32_e32 v21, v1
	s_mov_b64 s[0:1], 0x43e00001
	v_cmp_gt_u64_e32 vcc, s[0:1], v[20:21]
	s_and_saveexec_b64 s[0:1], vcc
	s_xor_b64 s[10:11], exec, s[0:1]
	s_cbranch_execz .LBB12_433
; %bb.422:
	v_cmp_ne_u32_e32 vcc, 0, v19
	v_mov_b32_e32 v9, 0
	s_and_saveexec_b64 s[12:13], vcc
	s_cbranch_execz .LBB12_432
; %bb.423:
	v_bfe_u32 v9, v19, 23, 8
	s_movk_i32 s0, 0x7a
	v_sub_u32_e32 v20, 0x79, v9
	v_cmp_gt_u32_e32 vcc, s0, v9
	v_add_u32_e32 v19, 0xffffff81, v9
	v_cndmask_b32_e32 v20, 0, v20, vcc
	v_mov_b32_e32 v22, 0xffffff82
	v_cmp_eq_u32_e32 vcc, 0, v9
	v_cndmask_b32_e32 v9, v19, v22, vcc
	v_mov_b32_e32 v19, 0x78
	v_cndmask_b32_e32 v19, v20, v19, vcc
	v_or_b32_e32 v21, 0x800000, v0
	v_add_u32_e32 v20, 20, v19
	v_cndmask_b32_e32 v0, v21, v0, vcc
	v_lshlrev_b64 v[20:21], v20, -1
	v_not_b32_e32 v20, v20
	v_and_b32_e32 v22, v0, v20
	v_add_u32_e32 v20, 19, v19
	v_lshrrev_b64 v[0:1], v19, v[0:1]
	v_not_b32_e32 v21, v21
	v_lshlrev_b64 v[24:25], v20, 1
	v_lshrrev_b32_e32 v20, 23, v0
	v_and_b32_e32 v23, 0, v21
	v_add3_u32 v20, v19, v9, v20
	v_bfe_u32 v19, v0, 20, 1
	v_add_u32_e32 v19, -1, v19
	v_cmp_eq_u64_e32 vcc, v[22:23], v[24:25]
	v_cndmask_b32_e32 v19, 0, v19, vcc
	v_add_u32_e32 v19, v19, v0
	v_and_b32_e32 v19, 0xfffff, v19
	v_add_co_u32_e32 v0, vcc, v19, v0
	v_add_u32_e32 v9, 6, v20
	v_addc_co_u32_e32 v1, vcc, 0, v1, vcc
	v_cmp_ne_u32_e32 vcc, 0, v9
                                        ; implicit-def: $vgpr19
	s_and_saveexec_b64 s[0:1], vcc
	s_xor_b64 s[0:1], exec, s[0:1]
; %bb.424:
	s_mov_b64 s[16:17], 0xffffff
	v_add_u32_e32 v19, 7, v20
	v_cmp_lt_u64_e32 vcc, s[16:17], v[0:1]
	v_cndmask_b32_e32 v19, v9, v19, vcc
	v_cndmask_b32_e64 v9, 0, 1, vcc
	v_lshrrev_b64 v[0:1], v9, v[0:1]
; %bb.425:
	s_andn2_saveexec_b64 s[0:1], s[0:1]
; %bb.426:
	v_bfe_u32 v19, v0, 23, 1
; %bb.427:
	s_or_b64 exec, exec, s[0:1]
	v_lshrrev_b64 v[0:1], 20, v[0:1]
	v_cmp_gt_i32_e32 vcc, 16, v19
	v_cndmask_b32_e32 v1, 0, v1, vcc
	v_cndmask_b32_e32 v0, 7, v0, vcc
	v_cmp_ne_u32_e32 vcc, 0, v19
	v_cmp_ne_u64_e64 s[0:1], 0, v[0:1]
	s_or_b64 s[0:1], vcc, s[0:1]
                                        ; implicit-def: $vgpr9
	s_and_saveexec_b64 s[16:17], s[0:1]
	s_xor_b64 s[0:1], exec, s[16:17]
; %bb.428:
	v_min_i32_e32 v1, 15, v19
	v_lshl_or_b32 v1, v1, 3, v17
	v_and_or_b32 v9, v0, 7, v1
                                        ; implicit-def: $vgpr17
; %bb.429:
	s_andn2_saveexec_b64 s[0:1], s[0:1]
; %bb.430:
	v_mov_b32_e32 v9, v17
; %bb.431:
	s_or_b64 exec, exec, s[0:1]
.LBB12_432:
	s_or_b64 exec, exec, s[12:13]
.LBB12_433:
	s_andn2_saveexec_b64 s[0:1], s[10:11]
	s_or_b64 exec, exec, s[0:1]
                                        ; implicit-def: $vgpr19
                                        ; implicit-def: $vgpr0_vgpr1
.LBB12_434:
	s_andn2_saveexec_b64 s[0:1], s[8:9]
; %bb.435:
	s_movk_i32 s8, 0x7f
	v_or_b32_sdwa v17, v19, s8 dst_sel:DWORD dst_unused:UNUSED_PAD src0_sel:BYTE_3 src1_sel:DWORD
	v_cmp_eq_u64_e32 vcc, 0, v[0:1]
	v_cndmask_b32_e32 v9, v17, v9, vcc
; %bb.436:
	s_or_b64 exec, exec, s[0:1]
	v_mul_f32_e32 v0, s14, v10
	v_max_f32_e32 v0, 0xc3e00000, v0
	v_min_f32_e32 v19, 0x43e00000, v0
	v_mov_b32_e32 v1, 0
	s_movk_i32 s0, 0x80
	v_and_b32_sdwa v17, v19, s0 dst_sel:DWORD dst_unused:UNUSED_PAD src0_sel:BYTE_3 src1_sel:DWORD
	v_and_b32_e32 v20, 0x7f800000, v19
	v_mov_b32_e32 v21, v1
	s_mov_b64 s[0:1], 0x7f800000
	v_and_b32_e32 v0, 0x7fffff, v19
	v_or_b32_e32 v10, 0x7e, v17
	v_cmp_ne_u64_e32 vcc, s[0:1], v[20:21]
	s_and_saveexec_b64 s[0:1], vcc
	s_xor_b64 s[8:9], exec, s[0:1]
	s_cbranch_execz .LBB12_450
; %bb.437:
	v_and_b32_e32 v20, 0x7fffffff, v19
	v_mov_b32_e32 v21, v1
	s_mov_b64 s[0:1], 0x43e00001
	v_cmp_gt_u64_e32 vcc, s[0:1], v[20:21]
	s_and_saveexec_b64 s[0:1], vcc
	s_xor_b64 s[10:11], exec, s[0:1]
	s_cbranch_execz .LBB12_449
; %bb.438:
	v_cmp_ne_u32_e32 vcc, 0, v19
	v_mov_b32_e32 v10, 0
	s_and_saveexec_b64 s[12:13], vcc
	s_cbranch_execz .LBB12_448
; %bb.439:
	v_bfe_u32 v10, v19, 23, 8
	s_movk_i32 s0, 0x7a
	v_sub_u32_e32 v20, 0x79, v10
	v_cmp_gt_u32_e32 vcc, s0, v10
	v_add_u32_e32 v19, 0xffffff81, v10
	v_cndmask_b32_e32 v20, 0, v20, vcc
	v_mov_b32_e32 v22, 0xffffff82
	v_cmp_eq_u32_e32 vcc, 0, v10
	v_cndmask_b32_e32 v10, v19, v22, vcc
	v_mov_b32_e32 v19, 0x78
	v_cndmask_b32_e32 v19, v20, v19, vcc
	v_or_b32_e32 v21, 0x800000, v0
	v_add_u32_e32 v20, 20, v19
	v_cndmask_b32_e32 v0, v21, v0, vcc
	v_lshlrev_b64 v[20:21], v20, -1
	v_not_b32_e32 v20, v20
	v_and_b32_e32 v22, v0, v20
	v_add_u32_e32 v20, 19, v19
	v_lshrrev_b64 v[0:1], v19, v[0:1]
	v_not_b32_e32 v21, v21
	v_lshlrev_b64 v[24:25], v20, 1
	v_lshrrev_b32_e32 v20, 23, v0
	v_and_b32_e32 v23, 0, v21
	v_add3_u32 v20, v19, v10, v20
	v_bfe_u32 v19, v0, 20, 1
	v_add_u32_e32 v19, -1, v19
	v_cmp_eq_u64_e32 vcc, v[22:23], v[24:25]
	v_cndmask_b32_e32 v19, 0, v19, vcc
	v_add_u32_e32 v19, v19, v0
	v_and_b32_e32 v19, 0xfffff, v19
	v_add_co_u32_e32 v0, vcc, v19, v0
	v_add_u32_e32 v10, 6, v20
	v_addc_co_u32_e32 v1, vcc, 0, v1, vcc
	v_cmp_ne_u32_e32 vcc, 0, v10
                                        ; implicit-def: $vgpr19
	s_and_saveexec_b64 s[0:1], vcc
	s_xor_b64 s[0:1], exec, s[0:1]
; %bb.440:
	s_mov_b64 s[16:17], 0xffffff
	v_add_u32_e32 v19, 7, v20
	v_cmp_lt_u64_e32 vcc, s[16:17], v[0:1]
	v_cndmask_b32_e32 v19, v10, v19, vcc
	v_cndmask_b32_e64 v10, 0, 1, vcc
	v_lshrrev_b64 v[0:1], v10, v[0:1]
; %bb.441:
	s_andn2_saveexec_b64 s[0:1], s[0:1]
; %bb.442:
	v_bfe_u32 v19, v0, 23, 1
; %bb.443:
	s_or_b64 exec, exec, s[0:1]
	v_lshrrev_b64 v[0:1], 20, v[0:1]
	v_cmp_gt_i32_e32 vcc, 16, v19
	v_cndmask_b32_e32 v1, 0, v1, vcc
	v_cndmask_b32_e32 v0, 7, v0, vcc
	v_cmp_ne_u32_e32 vcc, 0, v19
	v_cmp_ne_u64_e64 s[0:1], 0, v[0:1]
	s_or_b64 s[0:1], vcc, s[0:1]
                                        ; implicit-def: $vgpr10
	s_and_saveexec_b64 s[16:17], s[0:1]
	s_xor_b64 s[0:1], exec, s[16:17]
; %bb.444:
	v_min_i32_e32 v1, 15, v19
	v_lshl_or_b32 v1, v1, 3, v17
	v_and_or_b32 v10, v0, 7, v1
                                        ; implicit-def: $vgpr17
; %bb.445:
	s_andn2_saveexec_b64 s[0:1], s[0:1]
; %bb.446:
	v_mov_b32_e32 v10, v17
; %bb.447:
	s_or_b64 exec, exec, s[0:1]
.LBB12_448:
	s_or_b64 exec, exec, s[12:13]
.LBB12_449:
	s_andn2_saveexec_b64 s[0:1], s[10:11]
	s_or_b64 exec, exec, s[0:1]
                                        ; implicit-def: $vgpr19
                                        ; implicit-def: $vgpr0_vgpr1
.LBB12_450:
	s_andn2_saveexec_b64 s[0:1], s[8:9]
; %bb.451:
	s_movk_i32 s8, 0x7f
	v_or_b32_sdwa v17, v19, s8 dst_sel:DWORD dst_unused:UNUSED_PAD src0_sel:BYTE_3 src1_sel:DWORD
	v_cmp_eq_u64_e32 vcc, 0, v[0:1]
	v_cndmask_b32_e32 v10, v17, v10, vcc
; %bb.452:
	s_or_b64 exec, exec, s[0:1]
	v_mul_f32_e32 v0, s14, v11
	v_max_f32_e32 v0, 0xc3e00000, v0
	v_min_f32_e32 v19, 0x43e00000, v0
	v_mov_b32_e32 v1, 0
	s_movk_i32 s0, 0x80
	v_and_b32_sdwa v17, v19, s0 dst_sel:DWORD dst_unused:UNUSED_PAD src0_sel:BYTE_3 src1_sel:DWORD
	v_and_b32_e32 v20, 0x7f800000, v19
	v_mov_b32_e32 v21, v1
	s_mov_b64 s[0:1], 0x7f800000
	v_and_b32_e32 v0, 0x7fffff, v19
	v_or_b32_e32 v11, 0x7e, v17
	v_cmp_ne_u64_e32 vcc, s[0:1], v[20:21]
	s_and_saveexec_b64 s[0:1], vcc
	s_xor_b64 s[8:9], exec, s[0:1]
	s_cbranch_execz .LBB12_466
; %bb.453:
	v_and_b32_e32 v20, 0x7fffffff, v19
	v_mov_b32_e32 v21, v1
	s_mov_b64 s[0:1], 0x43e00001
	v_cmp_gt_u64_e32 vcc, s[0:1], v[20:21]
	s_and_saveexec_b64 s[0:1], vcc
	s_xor_b64 s[10:11], exec, s[0:1]
	s_cbranch_execz .LBB12_465
; %bb.454:
	v_cmp_ne_u32_e32 vcc, 0, v19
	v_mov_b32_e32 v11, 0
	s_and_saveexec_b64 s[12:13], vcc
	s_cbranch_execz .LBB12_464
; %bb.455:
	v_bfe_u32 v11, v19, 23, 8
	s_movk_i32 s0, 0x7a
	v_sub_u32_e32 v20, 0x79, v11
	v_cmp_gt_u32_e32 vcc, s0, v11
	v_add_u32_e32 v19, 0xffffff81, v11
	v_cndmask_b32_e32 v20, 0, v20, vcc
	v_mov_b32_e32 v22, 0xffffff82
	v_cmp_eq_u32_e32 vcc, 0, v11
	v_cndmask_b32_e32 v11, v19, v22, vcc
	v_mov_b32_e32 v19, 0x78
	v_cndmask_b32_e32 v19, v20, v19, vcc
	v_or_b32_e32 v21, 0x800000, v0
	v_add_u32_e32 v20, 20, v19
	v_cndmask_b32_e32 v0, v21, v0, vcc
	v_lshlrev_b64 v[20:21], v20, -1
	v_not_b32_e32 v20, v20
	v_and_b32_e32 v22, v0, v20
	v_add_u32_e32 v20, 19, v19
	v_lshrrev_b64 v[0:1], v19, v[0:1]
	v_not_b32_e32 v21, v21
	v_lshlrev_b64 v[24:25], v20, 1
	v_lshrrev_b32_e32 v20, 23, v0
	v_and_b32_e32 v23, 0, v21
	v_add3_u32 v20, v19, v11, v20
	v_bfe_u32 v19, v0, 20, 1
	v_add_u32_e32 v19, -1, v19
	v_cmp_eq_u64_e32 vcc, v[22:23], v[24:25]
	v_cndmask_b32_e32 v19, 0, v19, vcc
	v_add_u32_e32 v19, v19, v0
	v_and_b32_e32 v19, 0xfffff, v19
	v_add_co_u32_e32 v0, vcc, v19, v0
	v_add_u32_e32 v11, 6, v20
	v_addc_co_u32_e32 v1, vcc, 0, v1, vcc
	v_cmp_ne_u32_e32 vcc, 0, v11
                                        ; implicit-def: $vgpr19
	s_and_saveexec_b64 s[0:1], vcc
	s_xor_b64 s[0:1], exec, s[0:1]
; %bb.456:
	s_mov_b64 s[16:17], 0xffffff
	v_add_u32_e32 v19, 7, v20
	v_cmp_lt_u64_e32 vcc, s[16:17], v[0:1]
	v_cndmask_b32_e32 v19, v11, v19, vcc
	v_cndmask_b32_e64 v11, 0, 1, vcc
	v_lshrrev_b64 v[0:1], v11, v[0:1]
; %bb.457:
	s_andn2_saveexec_b64 s[0:1], s[0:1]
; %bb.458:
	v_bfe_u32 v19, v0, 23, 1
; %bb.459:
	s_or_b64 exec, exec, s[0:1]
	v_lshrrev_b64 v[0:1], 20, v[0:1]
	v_cmp_gt_i32_e32 vcc, 16, v19
	v_cndmask_b32_e32 v1, 0, v1, vcc
	v_cndmask_b32_e32 v0, 7, v0, vcc
	v_cmp_ne_u32_e32 vcc, 0, v19
	v_cmp_ne_u64_e64 s[0:1], 0, v[0:1]
	s_or_b64 s[0:1], vcc, s[0:1]
                                        ; implicit-def: $vgpr11
	s_and_saveexec_b64 s[16:17], s[0:1]
	s_xor_b64 s[0:1], exec, s[16:17]
; %bb.460:
	v_min_i32_e32 v1, 15, v19
	v_lshl_or_b32 v1, v1, 3, v17
	v_and_or_b32 v11, v0, 7, v1
                                        ; implicit-def: $vgpr17
; %bb.461:
	s_andn2_saveexec_b64 s[0:1], s[0:1]
; %bb.462:
	v_mov_b32_e32 v11, v17
; %bb.463:
	s_or_b64 exec, exec, s[0:1]
.LBB12_464:
	s_or_b64 exec, exec, s[12:13]
.LBB12_465:
	s_andn2_saveexec_b64 s[0:1], s[10:11]
	s_or_b64 exec, exec, s[0:1]
                                        ; implicit-def: $vgpr19
                                        ; implicit-def: $vgpr0_vgpr1
.LBB12_466:
	s_andn2_saveexec_b64 s[0:1], s[8:9]
; %bb.467:
	s_movk_i32 s8, 0x7f
	v_or_b32_sdwa v17, v19, s8 dst_sel:DWORD dst_unused:UNUSED_PAD src0_sel:BYTE_3 src1_sel:DWORD
	v_cmp_eq_u64_e32 vcc, 0, v[0:1]
	v_cndmask_b32_e32 v11, v17, v11, vcc
; %bb.468:
	s_or_b64 exec, exec, s[0:1]
	v_mul_f32_e32 v0, s14, v12
	v_max_f32_e32 v0, 0xc3e00000, v0
	v_min_f32_e32 v19, 0x43e00000, v0
	v_mov_b32_e32 v1, 0
	s_movk_i32 s0, 0x80
	v_and_b32_sdwa v17, v19, s0 dst_sel:DWORD dst_unused:UNUSED_PAD src0_sel:BYTE_3 src1_sel:DWORD
	v_and_b32_e32 v20, 0x7f800000, v19
	v_mov_b32_e32 v21, v1
	s_mov_b64 s[0:1], 0x7f800000
	v_and_b32_e32 v0, 0x7fffff, v19
	v_or_b32_e32 v12, 0x7e, v17
	v_cmp_ne_u64_e32 vcc, s[0:1], v[20:21]
	s_and_saveexec_b64 s[0:1], vcc
	s_xor_b64 s[8:9], exec, s[0:1]
	s_cbranch_execz .LBB12_482
; %bb.469:
	v_and_b32_e32 v20, 0x7fffffff, v19
	v_mov_b32_e32 v21, v1
	s_mov_b64 s[0:1], 0x43e00001
	v_cmp_gt_u64_e32 vcc, s[0:1], v[20:21]
	s_and_saveexec_b64 s[0:1], vcc
	s_xor_b64 s[10:11], exec, s[0:1]
	s_cbranch_execz .LBB12_481
; %bb.470:
	v_cmp_ne_u32_e32 vcc, 0, v19
	v_mov_b32_e32 v12, 0
	s_and_saveexec_b64 s[12:13], vcc
	s_cbranch_execz .LBB12_480
; %bb.471:
	v_bfe_u32 v12, v19, 23, 8
	s_movk_i32 s0, 0x7a
	v_sub_u32_e32 v20, 0x79, v12
	v_cmp_gt_u32_e32 vcc, s0, v12
	v_add_u32_e32 v19, 0xffffff81, v12
	v_cndmask_b32_e32 v20, 0, v20, vcc
	v_mov_b32_e32 v22, 0xffffff82
	v_cmp_eq_u32_e32 vcc, 0, v12
	v_cndmask_b32_e32 v12, v19, v22, vcc
	v_mov_b32_e32 v19, 0x78
	v_cndmask_b32_e32 v19, v20, v19, vcc
	v_or_b32_e32 v21, 0x800000, v0
	v_add_u32_e32 v20, 20, v19
	v_cndmask_b32_e32 v0, v21, v0, vcc
	v_lshlrev_b64 v[20:21], v20, -1
	v_not_b32_e32 v20, v20
	v_and_b32_e32 v22, v0, v20
	v_add_u32_e32 v20, 19, v19
	v_lshrrev_b64 v[0:1], v19, v[0:1]
	v_not_b32_e32 v21, v21
	v_lshlrev_b64 v[24:25], v20, 1
	v_lshrrev_b32_e32 v20, 23, v0
	v_and_b32_e32 v23, 0, v21
	v_add3_u32 v20, v19, v12, v20
	v_bfe_u32 v19, v0, 20, 1
	v_add_u32_e32 v19, -1, v19
	v_cmp_eq_u64_e32 vcc, v[22:23], v[24:25]
	v_cndmask_b32_e32 v19, 0, v19, vcc
	v_add_u32_e32 v19, v19, v0
	v_and_b32_e32 v19, 0xfffff, v19
	v_add_co_u32_e32 v0, vcc, v19, v0
	v_add_u32_e32 v12, 6, v20
	v_addc_co_u32_e32 v1, vcc, 0, v1, vcc
	v_cmp_ne_u32_e32 vcc, 0, v12
                                        ; implicit-def: $vgpr19
	s_and_saveexec_b64 s[0:1], vcc
	s_xor_b64 s[0:1], exec, s[0:1]
; %bb.472:
	s_mov_b64 s[16:17], 0xffffff
	v_add_u32_e32 v19, 7, v20
	v_cmp_lt_u64_e32 vcc, s[16:17], v[0:1]
	v_cndmask_b32_e32 v19, v12, v19, vcc
	v_cndmask_b32_e64 v12, 0, 1, vcc
	v_lshrrev_b64 v[0:1], v12, v[0:1]
; %bb.473:
	s_andn2_saveexec_b64 s[0:1], s[0:1]
; %bb.474:
	v_bfe_u32 v19, v0, 23, 1
; %bb.475:
	s_or_b64 exec, exec, s[0:1]
	v_lshrrev_b64 v[0:1], 20, v[0:1]
	v_cmp_gt_i32_e32 vcc, 16, v19
	v_cndmask_b32_e32 v1, 0, v1, vcc
	v_cndmask_b32_e32 v0, 7, v0, vcc
	v_cmp_ne_u32_e32 vcc, 0, v19
	v_cmp_ne_u64_e64 s[0:1], 0, v[0:1]
	s_or_b64 s[0:1], vcc, s[0:1]
                                        ; implicit-def: $vgpr12
	s_and_saveexec_b64 s[16:17], s[0:1]
	s_xor_b64 s[0:1], exec, s[16:17]
; %bb.476:
	v_min_i32_e32 v1, 15, v19
	v_lshl_or_b32 v1, v1, 3, v17
	v_and_or_b32 v12, v0, 7, v1
                                        ; implicit-def: $vgpr17
; %bb.477:
	s_andn2_saveexec_b64 s[0:1], s[0:1]
; %bb.478:
	v_mov_b32_e32 v12, v17
; %bb.479:
	s_or_b64 exec, exec, s[0:1]
.LBB12_480:
	s_or_b64 exec, exec, s[12:13]
.LBB12_481:
	s_andn2_saveexec_b64 s[0:1], s[10:11]
	s_or_b64 exec, exec, s[0:1]
                                        ; implicit-def: $vgpr19
                                        ; implicit-def: $vgpr0_vgpr1
.LBB12_482:
	s_andn2_saveexec_b64 s[0:1], s[8:9]
; %bb.483:
	s_movk_i32 s8, 0x7f
	v_or_b32_sdwa v17, v19, s8 dst_sel:DWORD dst_unused:UNUSED_PAD src0_sel:BYTE_3 src1_sel:DWORD
	v_cmp_eq_u64_e32 vcc, 0, v[0:1]
	v_cndmask_b32_e32 v12, v17, v12, vcc
; %bb.484:
	s_or_b64 exec, exec, s[0:1]
	v_mul_f32_e32 v0, s14, v13
	v_max_f32_e32 v0, 0xc3e00000, v0
	v_min_f32_e32 v19, 0x43e00000, v0
	v_mov_b32_e32 v1, 0
	s_movk_i32 s0, 0x80
	v_and_b32_sdwa v17, v19, s0 dst_sel:DWORD dst_unused:UNUSED_PAD src0_sel:BYTE_3 src1_sel:DWORD
	v_and_b32_e32 v20, 0x7f800000, v19
	v_mov_b32_e32 v21, v1
	s_mov_b64 s[0:1], 0x7f800000
	v_and_b32_e32 v0, 0x7fffff, v19
	v_or_b32_e32 v13, 0x7e, v17
	v_cmp_ne_u64_e32 vcc, s[0:1], v[20:21]
	s_and_saveexec_b64 s[0:1], vcc
	s_xor_b64 s[8:9], exec, s[0:1]
	s_cbranch_execz .LBB12_498
; %bb.485:
	v_and_b32_e32 v20, 0x7fffffff, v19
	v_mov_b32_e32 v21, v1
	s_mov_b64 s[0:1], 0x43e00001
	v_cmp_gt_u64_e32 vcc, s[0:1], v[20:21]
	s_and_saveexec_b64 s[0:1], vcc
	s_xor_b64 s[10:11], exec, s[0:1]
	s_cbranch_execz .LBB12_497
; %bb.486:
	v_cmp_ne_u32_e32 vcc, 0, v19
	v_mov_b32_e32 v13, 0
	s_and_saveexec_b64 s[12:13], vcc
	s_cbranch_execz .LBB12_496
; %bb.487:
	v_bfe_u32 v13, v19, 23, 8
	s_movk_i32 s0, 0x7a
	v_sub_u32_e32 v20, 0x79, v13
	v_cmp_gt_u32_e32 vcc, s0, v13
	v_add_u32_e32 v19, 0xffffff81, v13
	v_cndmask_b32_e32 v20, 0, v20, vcc
	v_mov_b32_e32 v22, 0xffffff82
	v_cmp_eq_u32_e32 vcc, 0, v13
	v_cndmask_b32_e32 v13, v19, v22, vcc
	v_mov_b32_e32 v19, 0x78
	v_cndmask_b32_e32 v19, v20, v19, vcc
	v_or_b32_e32 v21, 0x800000, v0
	v_add_u32_e32 v20, 20, v19
	v_cndmask_b32_e32 v0, v21, v0, vcc
	v_lshlrev_b64 v[20:21], v20, -1
	v_not_b32_e32 v20, v20
	v_and_b32_e32 v22, v0, v20
	v_add_u32_e32 v20, 19, v19
	v_lshrrev_b64 v[0:1], v19, v[0:1]
	v_not_b32_e32 v21, v21
	v_lshlrev_b64 v[24:25], v20, 1
	v_lshrrev_b32_e32 v20, 23, v0
	v_and_b32_e32 v23, 0, v21
	v_add3_u32 v20, v19, v13, v20
	v_bfe_u32 v19, v0, 20, 1
	v_add_u32_e32 v19, -1, v19
	v_cmp_eq_u64_e32 vcc, v[22:23], v[24:25]
	v_cndmask_b32_e32 v19, 0, v19, vcc
	v_add_u32_e32 v19, v19, v0
	v_and_b32_e32 v19, 0xfffff, v19
	v_add_co_u32_e32 v0, vcc, v19, v0
	v_add_u32_e32 v13, 6, v20
	v_addc_co_u32_e32 v1, vcc, 0, v1, vcc
	v_cmp_ne_u32_e32 vcc, 0, v13
                                        ; implicit-def: $vgpr19
	s_and_saveexec_b64 s[0:1], vcc
	s_xor_b64 s[0:1], exec, s[0:1]
; %bb.488:
	s_mov_b64 s[16:17], 0xffffff
	v_add_u32_e32 v19, 7, v20
	v_cmp_lt_u64_e32 vcc, s[16:17], v[0:1]
	v_cndmask_b32_e32 v19, v13, v19, vcc
	v_cndmask_b32_e64 v13, 0, 1, vcc
	v_lshrrev_b64 v[0:1], v13, v[0:1]
; %bb.489:
	s_andn2_saveexec_b64 s[0:1], s[0:1]
; %bb.490:
	v_bfe_u32 v19, v0, 23, 1
; %bb.491:
	s_or_b64 exec, exec, s[0:1]
	v_lshrrev_b64 v[0:1], 20, v[0:1]
	v_cmp_gt_i32_e32 vcc, 16, v19
	v_cndmask_b32_e32 v1, 0, v1, vcc
	v_cndmask_b32_e32 v0, 7, v0, vcc
	v_cmp_ne_u32_e32 vcc, 0, v19
	v_cmp_ne_u64_e64 s[0:1], 0, v[0:1]
	s_or_b64 s[0:1], vcc, s[0:1]
                                        ; implicit-def: $vgpr13
	s_and_saveexec_b64 s[16:17], s[0:1]
	s_xor_b64 s[0:1], exec, s[16:17]
; %bb.492:
	v_min_i32_e32 v1, 15, v19
	v_lshl_or_b32 v1, v1, 3, v17
	v_and_or_b32 v13, v0, 7, v1
                                        ; implicit-def: $vgpr17
; %bb.493:
	s_andn2_saveexec_b64 s[0:1], s[0:1]
; %bb.494:
	v_mov_b32_e32 v13, v17
; %bb.495:
	s_or_b64 exec, exec, s[0:1]
.LBB12_496:
	s_or_b64 exec, exec, s[12:13]
.LBB12_497:
	s_andn2_saveexec_b64 s[0:1], s[10:11]
	s_or_b64 exec, exec, s[0:1]
                                        ; implicit-def: $vgpr19
                                        ; implicit-def: $vgpr0_vgpr1
.LBB12_498:
	s_andn2_saveexec_b64 s[0:1], s[8:9]
; %bb.499:
	s_movk_i32 s8, 0x7f
	v_or_b32_sdwa v17, v19, s8 dst_sel:DWORD dst_unused:UNUSED_PAD src0_sel:BYTE_3 src1_sel:DWORD
	v_cmp_eq_u64_e32 vcc, 0, v[0:1]
	v_cndmask_b32_e32 v13, v17, v13, vcc
; %bb.500:
	s_or_b64 exec, exec, s[0:1]
	v_mul_f32_e32 v0, s14, v14
	v_max_f32_e32 v0, 0xc3e00000, v0
	v_min_f32_e32 v19, 0x43e00000, v0
	v_mov_b32_e32 v1, 0
	s_movk_i32 s0, 0x80
	v_and_b32_sdwa v17, v19, s0 dst_sel:DWORD dst_unused:UNUSED_PAD src0_sel:BYTE_3 src1_sel:DWORD
	v_and_b32_e32 v20, 0x7f800000, v19
	v_mov_b32_e32 v21, v1
	s_mov_b64 s[0:1], 0x7f800000
	v_and_b32_e32 v0, 0x7fffff, v19
	v_or_b32_e32 v14, 0x7e, v17
	v_cmp_ne_u64_e32 vcc, s[0:1], v[20:21]
	s_and_saveexec_b64 s[0:1], vcc
	s_xor_b64 s[8:9], exec, s[0:1]
	s_cbranch_execz .LBB12_514
; %bb.501:
	v_and_b32_e32 v20, 0x7fffffff, v19
	v_mov_b32_e32 v21, v1
	s_mov_b64 s[0:1], 0x43e00001
	v_cmp_gt_u64_e32 vcc, s[0:1], v[20:21]
	s_and_saveexec_b64 s[0:1], vcc
	s_xor_b64 s[10:11], exec, s[0:1]
	s_cbranch_execz .LBB12_513
; %bb.502:
	v_cmp_ne_u32_e32 vcc, 0, v19
	v_mov_b32_e32 v14, 0
	s_and_saveexec_b64 s[12:13], vcc
	s_cbranch_execz .LBB12_512
; %bb.503:
	v_bfe_u32 v14, v19, 23, 8
	s_movk_i32 s0, 0x7a
	v_sub_u32_e32 v20, 0x79, v14
	v_cmp_gt_u32_e32 vcc, s0, v14
	v_add_u32_e32 v19, 0xffffff81, v14
	v_cndmask_b32_e32 v20, 0, v20, vcc
	v_mov_b32_e32 v22, 0xffffff82
	v_cmp_eq_u32_e32 vcc, 0, v14
	v_cndmask_b32_e32 v14, v19, v22, vcc
	v_mov_b32_e32 v19, 0x78
	v_cndmask_b32_e32 v19, v20, v19, vcc
	v_or_b32_e32 v21, 0x800000, v0
	v_add_u32_e32 v20, 20, v19
	v_cndmask_b32_e32 v0, v21, v0, vcc
	v_lshlrev_b64 v[20:21], v20, -1
	v_not_b32_e32 v20, v20
	v_and_b32_e32 v22, v0, v20
	v_add_u32_e32 v20, 19, v19
	v_lshrrev_b64 v[0:1], v19, v[0:1]
	v_not_b32_e32 v21, v21
	v_lshlrev_b64 v[24:25], v20, 1
	v_lshrrev_b32_e32 v20, 23, v0
	v_and_b32_e32 v23, 0, v21
	v_add3_u32 v20, v19, v14, v20
	v_bfe_u32 v19, v0, 20, 1
	v_add_u32_e32 v19, -1, v19
	v_cmp_eq_u64_e32 vcc, v[22:23], v[24:25]
	v_cndmask_b32_e32 v19, 0, v19, vcc
	v_add_u32_e32 v19, v19, v0
	v_and_b32_e32 v19, 0xfffff, v19
	v_add_co_u32_e32 v0, vcc, v19, v0
	v_add_u32_e32 v14, 6, v20
	v_addc_co_u32_e32 v1, vcc, 0, v1, vcc
	v_cmp_ne_u32_e32 vcc, 0, v14
                                        ; implicit-def: $vgpr19
	s_and_saveexec_b64 s[0:1], vcc
	s_xor_b64 s[0:1], exec, s[0:1]
; %bb.504:
	s_mov_b64 s[16:17], 0xffffff
	v_add_u32_e32 v19, 7, v20
	v_cmp_lt_u64_e32 vcc, s[16:17], v[0:1]
	v_cndmask_b32_e32 v19, v14, v19, vcc
	v_cndmask_b32_e64 v14, 0, 1, vcc
	v_lshrrev_b64 v[0:1], v14, v[0:1]
; %bb.505:
	s_andn2_saveexec_b64 s[0:1], s[0:1]
; %bb.506:
	v_bfe_u32 v19, v0, 23, 1
; %bb.507:
	s_or_b64 exec, exec, s[0:1]
	v_lshrrev_b64 v[0:1], 20, v[0:1]
	v_cmp_gt_i32_e32 vcc, 16, v19
	v_cndmask_b32_e32 v1, 0, v1, vcc
	v_cndmask_b32_e32 v0, 7, v0, vcc
	v_cmp_ne_u32_e32 vcc, 0, v19
	v_cmp_ne_u64_e64 s[0:1], 0, v[0:1]
	s_or_b64 s[0:1], vcc, s[0:1]
                                        ; implicit-def: $vgpr14
	s_and_saveexec_b64 s[16:17], s[0:1]
	s_xor_b64 s[0:1], exec, s[16:17]
; %bb.508:
	v_min_i32_e32 v1, 15, v19
	v_lshl_or_b32 v1, v1, 3, v17
	v_and_or_b32 v14, v0, 7, v1
                                        ; implicit-def: $vgpr17
; %bb.509:
	s_andn2_saveexec_b64 s[0:1], s[0:1]
; %bb.510:
	v_mov_b32_e32 v14, v17
; %bb.511:
	s_or_b64 exec, exec, s[0:1]
.LBB12_512:
	s_or_b64 exec, exec, s[12:13]
.LBB12_513:
	s_andn2_saveexec_b64 s[0:1], s[10:11]
	s_or_b64 exec, exec, s[0:1]
                                        ; implicit-def: $vgpr19
                                        ; implicit-def: $vgpr0_vgpr1
.LBB12_514:
	s_andn2_saveexec_b64 s[0:1], s[8:9]
; %bb.515:
	s_movk_i32 s8, 0x7f
	v_or_b32_sdwa v17, v19, s8 dst_sel:DWORD dst_unused:UNUSED_PAD src0_sel:BYTE_3 src1_sel:DWORD
	v_cmp_eq_u64_e32 vcc, 0, v[0:1]
	v_cndmask_b32_e32 v14, v17, v14, vcc
; %bb.516:
	s_or_b64 exec, exec, s[0:1]
	s_load_dwordx2 s[8:9], s[4:5], 0x8
	v_mul_f32_e32 v0, s14, v15
	v_max_f32_e32 v0, 0xc3e00000, v0
	v_min_f32_e32 v17, 0x43e00000, v0
	v_mov_b32_e32 v1, 0
	s_movk_i32 s0, 0x80
	v_and_b32_sdwa v15, v17, s0 dst_sel:DWORD dst_unused:UNUSED_PAD src0_sel:BYTE_3 src1_sel:DWORD
	v_and_b32_e32 v20, 0x7f800000, v17
	v_mov_b32_e32 v21, v1
	s_mov_b64 s[0:1], 0x7f800000
	v_and_b32_e32 v0, 0x7fffff, v17
	v_or_b32_e32 v19, 0x7e, v15
	v_cmp_ne_u64_e32 vcc, s[0:1], v[20:21]
	s_and_saveexec_b64 s[0:1], vcc
	s_xor_b64 s[10:11], exec, s[0:1]
	s_cbranch_execz .LBB12_530
; %bb.517:
	v_and_b32_e32 v20, 0x7fffffff, v17
	v_mov_b32_e32 v21, v1
	s_mov_b64 s[0:1], 0x43e00001
	v_cmp_gt_u64_e32 vcc, s[0:1], v[20:21]
	s_and_saveexec_b64 s[0:1], vcc
	s_xor_b64 s[12:13], exec, s[0:1]
	s_cbranch_execz .LBB12_529
; %bb.518:
	v_cmp_ne_u32_e32 vcc, 0, v17
	v_mov_b32_e32 v19, 0
	s_and_saveexec_b64 s[14:15], vcc
	s_cbranch_execz .LBB12_528
; %bb.519:
	v_bfe_u32 v17, v17, 23, 8
	s_movk_i32 s0, 0x7a
	v_sub_u32_e32 v20, 0x79, v17
	v_cmp_gt_u32_e32 vcc, s0, v17
	v_add_u32_e32 v19, 0xffffff81, v17
	v_cndmask_b32_e32 v20, 0, v20, vcc
	v_mov_b32_e32 v22, 0xffffff82
	v_cmp_eq_u32_e32 vcc, 0, v17
	v_cndmask_b32_e32 v17, v19, v22, vcc
	v_mov_b32_e32 v19, 0x78
	v_cndmask_b32_e32 v19, v20, v19, vcc
	v_or_b32_e32 v21, 0x800000, v0
	v_add_u32_e32 v20, 20, v19
	v_cndmask_b32_e32 v0, v21, v0, vcc
	v_lshlrev_b64 v[20:21], v20, -1
	v_not_b32_e32 v20, v20
	v_and_b32_e32 v22, v0, v20
	v_add_u32_e32 v20, 19, v19
	v_lshrrev_b64 v[0:1], v19, v[0:1]
	v_not_b32_e32 v21, v21
	v_lshlrev_b64 v[24:25], v20, 1
	v_lshrrev_b32_e32 v20, 23, v0
	v_and_b32_e32 v23, 0, v21
	v_add3_u32 v20, v19, v17, v20
	v_bfe_u32 v17, v0, 20, 1
	v_add_u32_e32 v17, -1, v17
	v_cmp_eq_u64_e32 vcc, v[22:23], v[24:25]
	v_cndmask_b32_e32 v17, 0, v17, vcc
	v_add_u32_e32 v17, v17, v0
	v_and_b32_e32 v17, 0xfffff, v17
	v_add_co_u32_e32 v0, vcc, v17, v0
	v_add_u32_e32 v19, 6, v20
	v_addc_co_u32_e32 v1, vcc, 0, v1, vcc
	v_cmp_ne_u32_e32 vcc, 0, v19
                                        ; implicit-def: $vgpr17
	s_and_saveexec_b64 s[0:1], vcc
	s_xor_b64 s[0:1], exec, s[0:1]
; %bb.520:
	s_mov_b64 s[16:17], 0xffffff
	v_add_u32_e32 v17, 7, v20
	v_cmp_lt_u64_e32 vcc, s[16:17], v[0:1]
	v_cndmask_b32_e32 v17, v19, v17, vcc
	v_cndmask_b32_e64 v19, 0, 1, vcc
	v_lshrrev_b64 v[0:1], v19, v[0:1]
; %bb.521:
	s_andn2_saveexec_b64 s[0:1], s[0:1]
; %bb.522:
	v_bfe_u32 v17, v0, 23, 1
; %bb.523:
	s_or_b64 exec, exec, s[0:1]
	v_lshrrev_b64 v[0:1], 20, v[0:1]
	v_cmp_gt_i32_e32 vcc, 16, v17
	v_cndmask_b32_e32 v1, 0, v1, vcc
	v_cndmask_b32_e32 v0, 7, v0, vcc
	v_cmp_ne_u32_e32 vcc, 0, v17
	v_cmp_ne_u64_e64 s[0:1], 0, v[0:1]
	s_or_b64 s[0:1], vcc, s[0:1]
                                        ; implicit-def: $vgpr19
	s_and_saveexec_b64 s[16:17], s[0:1]
	s_xor_b64 s[0:1], exec, s[16:17]
; %bb.524:
	v_min_i32_e32 v1, 15, v17
	v_lshl_or_b32 v1, v1, 3, v15
	v_and_or_b32 v19, v0, 7, v1
                                        ; implicit-def: $vgpr15
; %bb.525:
	s_andn2_saveexec_b64 s[0:1], s[0:1]
; %bb.526:
	v_mov_b32_e32 v19, v15
; %bb.527:
	s_or_b64 exec, exec, s[0:1]
.LBB12_528:
	s_or_b64 exec, exec, s[14:15]
.LBB12_529:
	s_andn2_saveexec_b64 s[0:1], s[12:13]
	s_or_b64 exec, exec, s[0:1]
                                        ; implicit-def: $vgpr17
                                        ; implicit-def: $vgpr0_vgpr1
.LBB12_530:
	s_andn2_saveexec_b64 s[0:1], s[10:11]
; %bb.531:
	s_movk_i32 s10, 0x7f
	v_or_b32_sdwa v15, v17, s10 dst_sel:DWORD dst_unused:UNUSED_PAD src0_sel:BYTE_3 src1_sel:DWORD
	v_cmp_eq_u64_e32 vcc, 0, v[0:1]
	v_cndmask_b32_e32 v19, v15, v19, vcc
; %bb.532:
	s_or_b64 exec, exec, s[0:1]
	s_load_dwordx4 s[12:15], s[4:5], 0x10
	s_waitcnt lgkmcnt(0)
	v_pk_mov_b32 v[0:1], s[8:9], s[8:9] op_sel:[0,1]
	s_or_b64 s[6:7], s[6:7], exec
	v_mad_u64_u32 v[0:1], s[0:1], v32, s12, v[0:1]
	v_mul_lo_u32 v15, v32, s13
	v_mul_lo_u32 v17, v33, s12
	v_add3_u32 v1, v17, v1, v15
	v_mad_u64_u32 v[20:21], s[0:1], v34, s14, v[0:1]
	v_mul_lo_u32 v0, v34, s15
	v_mul_lo_u32 v1, v35, s14
	v_add3_u32 v21, v1, v21, v0
	v_lshlrev_b16_e32 v0, 8, v16
	v_lshlrev_b16_e32 v1, 8, v3
	v_or_b32_sdwa v0, v18, v0 dst_sel:DWORD dst_unused:UNUSED_PAD src0_sel:BYTE_0 src1_sel:DWORD
	v_or_b32_sdwa v1, v2, v1 dst_sel:WORD_1 dst_unused:UNUSED_PAD src0_sel:BYTE_0 src1_sel:DWORD
	v_or_b32_sdwa v16, v0, v1 dst_sel:DWORD dst_unused:UNUSED_PAD src0_sel:WORD_0 src1_sel:DWORD
	v_lshlrev_b16_e32 v0, 8, v5
	v_lshlrev_b16_e32 v1, 8, v7
	v_or_b32_sdwa v0, v4, v0 dst_sel:DWORD dst_unused:UNUSED_PAD src0_sel:BYTE_0 src1_sel:DWORD
	v_or_b32_sdwa v1, v6, v1 dst_sel:WORD_1 dst_unused:UNUSED_PAD src0_sel:BYTE_0 src1_sel:DWORD
	v_or_b32_sdwa v17, v0, v1 dst_sel:DWORD dst_unused:UNUSED_PAD src0_sel:WORD_0 src1_sel:DWORD
	;; [unrolled: 5-line block ×4, first 2 shown]
	s_or_b64 exec, exec, s[2:3]
	s_and_b64 exec, exec, s[6:7]
	s_cbranch_execnz .LBB12_11
	s_branch .LBB12_12
	.section	.rodata,"a",@progbits
	.p2align	6, 0x0
	.amdhsa_kernel _ZN4vllm21deepseek_v4_fused_ops30fusedDeepseekV4FullCacheKernelIN3c104HalfELb1ELb1EEEvPT_PhllPKS4_S6_PKlSA_PKfSC_SC_fiiiill
		.amdhsa_group_segment_fixed_size 0
		.amdhsa_private_segment_fixed_size 0
		.amdhsa_kernarg_size 384
		.amdhsa_user_sgpr_count 6
		.amdhsa_user_sgpr_private_segment_buffer 1
		.amdhsa_user_sgpr_dispatch_ptr 0
		.amdhsa_user_sgpr_queue_ptr 0
		.amdhsa_user_sgpr_kernarg_segment_ptr 1
		.amdhsa_user_sgpr_dispatch_id 0
		.amdhsa_user_sgpr_flat_scratch_init 0
		.amdhsa_user_sgpr_kernarg_preload_length 0
		.amdhsa_user_sgpr_kernarg_preload_offset 0
		.amdhsa_user_sgpr_private_segment_size 0
		.amdhsa_uses_dynamic_stack 0
		.amdhsa_system_sgpr_private_segment_wavefront_offset 0
		.amdhsa_system_sgpr_workgroup_id_x 1
		.amdhsa_system_sgpr_workgroup_id_y 0
		.amdhsa_system_sgpr_workgroup_id_z 0
		.amdhsa_system_sgpr_workgroup_info 0
		.amdhsa_system_vgpr_workitem_id 0
		.amdhsa_next_free_vgpr 56
		.amdhsa_next_free_sgpr 20
		.amdhsa_accum_offset 56
		.amdhsa_reserve_vcc 1
		.amdhsa_reserve_flat_scratch 0
		.amdhsa_float_round_mode_32 0
		.amdhsa_float_round_mode_16_64 0
		.amdhsa_float_denorm_mode_32 3
		.amdhsa_float_denorm_mode_16_64 3
		.amdhsa_dx10_clamp 1
		.amdhsa_ieee_mode 1
		.amdhsa_fp16_overflow 0
		.amdhsa_tg_split 0
		.amdhsa_exception_fp_ieee_invalid_op 0
		.amdhsa_exception_fp_denorm_src 0
		.amdhsa_exception_fp_ieee_div_zero 0
		.amdhsa_exception_fp_ieee_overflow 0
		.amdhsa_exception_fp_ieee_underflow 0
		.amdhsa_exception_fp_ieee_inexact 0
		.amdhsa_exception_int_div_zero 0
	.end_amdhsa_kernel
	.section	.text._ZN4vllm21deepseek_v4_fused_ops30fusedDeepseekV4FullCacheKernelIN3c104HalfELb1ELb1EEEvPT_PhllPKS4_S6_PKlSA_PKfSC_SC_fiiiill,"axG",@progbits,_ZN4vllm21deepseek_v4_fused_ops30fusedDeepseekV4FullCacheKernelIN3c104HalfELb1ELb1EEEvPT_PhllPKS4_S6_PKlSA_PKfSC_SC_fiiiill,comdat
.Lfunc_end12:
	.size	_ZN4vllm21deepseek_v4_fused_ops30fusedDeepseekV4FullCacheKernelIN3c104HalfELb1ELb1EEEvPT_PhllPKS4_S6_PKlSA_PKfSC_SC_fiiiill, .Lfunc_end12-_ZN4vllm21deepseek_v4_fused_ops30fusedDeepseekV4FullCacheKernelIN3c104HalfELb1ELb1EEEvPT_PhllPKS4_S6_PKlSA_PKfSC_SC_fiiiill
                                        ; -- End function
	.section	.AMDGPU.csdata,"",@progbits
; Kernel info:
; codeLenInByte = 18960
; NumSgprs: 24
; NumVgprs: 56
; NumAgprs: 0
; TotalNumVgprs: 56
; ScratchSize: 0
; MemoryBound: 0
; FloatMode: 240
; IeeeMode: 1
; LDSByteSize: 0 bytes/workgroup (compile time only)
; SGPRBlocks: 2
; VGPRBlocks: 6
; NumSGPRsForWavesPerEU: 24
; NumVGPRsForWavesPerEU: 56
; AccumOffset: 56
; Occupancy: 8
; WaveLimiterHint : 1
; COMPUTE_PGM_RSRC2:SCRATCH_EN: 0
; COMPUTE_PGM_RSRC2:USER_SGPR: 6
; COMPUTE_PGM_RSRC2:TRAP_HANDLER: 0
; COMPUTE_PGM_RSRC2:TGID_X_EN: 1
; COMPUTE_PGM_RSRC2:TGID_Y_EN: 0
; COMPUTE_PGM_RSRC2:TGID_Z_EN: 0
; COMPUTE_PGM_RSRC2:TIDIG_COMP_CNT: 0
; COMPUTE_PGM_RSRC3_GFX90A:ACCUM_OFFSET: 13
; COMPUTE_PGM_RSRC3_GFX90A:TG_SPLIT: 0
	.section	.text._ZN4vllm21deepseek_v4_fused_ops30fusedDeepseekV4FullCacheKernelIN3c108BFloat16ELb1ELb1EEEvPT_PhllPKS4_S6_PKlSA_PKfSC_SC_fiiiill,"axG",@progbits,_ZN4vllm21deepseek_v4_fused_ops30fusedDeepseekV4FullCacheKernelIN3c108BFloat16ELb1ELb1EEEvPT_PhllPKS4_S6_PKlSA_PKfSC_SC_fiiiill,comdat
	.protected	_ZN4vllm21deepseek_v4_fused_ops30fusedDeepseekV4FullCacheKernelIN3c108BFloat16ELb1ELb1EEEvPT_PhllPKS4_S6_PKlSA_PKfSC_SC_fiiiill ; -- Begin function _ZN4vllm21deepseek_v4_fused_ops30fusedDeepseekV4FullCacheKernelIN3c108BFloat16ELb1ELb1EEEvPT_PhllPKS4_S6_PKlSA_PKfSC_SC_fiiiill
	.globl	_ZN4vllm21deepseek_v4_fused_ops30fusedDeepseekV4FullCacheKernelIN3c108BFloat16ELb1ELb1EEEvPT_PhllPKS4_S6_PKlSA_PKfSC_SC_fiiiill
	.p2align	8
	.type	_ZN4vllm21deepseek_v4_fused_ops30fusedDeepseekV4FullCacheKernelIN3c108BFloat16ELb1ELb1EEEvPT_PhllPKS4_S6_PKlSA_PKfSC_SC_fiiiill,@function
_ZN4vllm21deepseek_v4_fused_ops30fusedDeepseekV4FullCacheKernelIN3c108BFloat16ELb1ELb1EEEvPT_PhllPKS4_S6_PKlSA_PKfSC_SC_fiiiill: ; @_ZN4vllm21deepseek_v4_fused_ops30fusedDeepseekV4FullCacheKernelIN3c108BFloat16ELb1ELb1EEEvPT_PhllPKS4_S6_PKlSA_PKfSC_SC_fiiiill
; %bb.0:
	s_load_dwordx4 s[8:11], s[4:5], 0x58
	s_load_dword s1, s[4:5], 0x8c
	v_lshrrev_b32_e32 v2, 5, v0
	s_waitcnt lgkmcnt(0)
	s_add_i32 s0, s11, 1
	s_abs_i32 s2, s0
	v_cvt_f32_u32_e32 v1, s2
	s_bfe_u32 s1, s1, 0xb0005
	s_mul_i32 s6, s6, s1
	s_sub_i32 s1, 0, s2
	v_rcp_iflag_f32_e32 v3, v1
	v_add_u32_e32 v1, s6, v2
	v_sub_u32_e32 v4, 0, v1
	v_max_i32_e32 v4, v1, v4
	v_mul_f32_e32 v3, 0x4f7ffffe, v3
	v_cvt_u32_f32_e32 v3, v3
	v_xor_b32_e32 v2, s0, v1
	v_ashrrev_i32_e32 v2, 31, v2
	v_mul_lo_u32 v5, s1, v3
	v_mul_hi_u32 v5, v3, v5
	v_add_u32_e32 v3, v3, v5
	v_mul_hi_u32 v3, v4, v3
	v_mul_lo_u32 v5, v3, s2
	v_sub_u32_e32 v4, v4, v5
	v_add_u32_e32 v6, 1, v3
	v_cmp_le_u32_e32 vcc, s2, v4
	v_subrev_u32_e32 v5, s2, v4
	v_cndmask_b32_e32 v3, v3, v6, vcc
	v_cndmask_b32_e32 v4, v4, v5, vcc
	v_add_u32_e32 v5, 1, v3
	v_cmp_le_u32_e32 vcc, s2, v4
	v_cndmask_b32_e32 v3, v3, v5, vcc
	v_xor_b32_e32 v3, v3, v2
	v_sub_u32_e32 v32, v3, v2
	v_cmp_gt_i32_e32 vcc, s9, v32
	s_and_saveexec_b64 s[2:3], vcc
	s_cbranch_execz .LBB13_12
; %bb.1:
	s_load_dword s16, s[4:5], 0x68
	v_mul_lo_u32 v2, v32, s0
	v_sub_u32_e32 v34, v1, v2
	v_cmp_ne_u32_e64 s[0:1], s11, v34
	v_cmp_gt_i32_e64 s[2:3], s10, v32
	v_cmp_eq_u32_e32 vcc, s11, v34
	s_or_b64 s[2:3], s[2:3], s[0:1]
	s_and_b64 exec, exec, s[2:3]
	s_cbranch_execz .LBB13_12
; %bb.2:
	s_load_dwordx2 s[2:3], s[4:5], 0x20
	v_ashrrev_i32_e32 v33, 31, v32
	v_ashrrev_i32_e32 v35, 31, v34
	v_pk_mov_b32 v[4:5], v[32:33], v[32:33] op_sel:[0,1]
	s_waitcnt lgkmcnt(0)
	v_pk_mov_b32 v[2:3], s[2:3], s[2:3] op_sel:[0,1]
	s_and_saveexec_b64 s[2:3], s[0:1]
	s_cbranch_execz .LBB13_4
; %bb.3:
	s_load_dwordx2 s[6:7], s[4:5], 0x0
	v_mad_i64_i32 v[4:5], s[10:11], v32, s11, v[34:35]
	s_waitcnt lgkmcnt(0)
	v_pk_mov_b32 v[2:3], s[6:7], s[6:7] op_sel:[0,1]
.LBB13_4:
	s_or_b64 exec, exec, s[2:3]
	v_lshlrev_b32_e32 v0, 4, v0
	v_and_b32_e32 v38, 0x1f0, v0
	v_lshlrev_b64 v[0:1], 10, v[4:5]
	v_add_co_u32_e64 v0, s[2:3], v2, v0
	v_addc_co_u32_e64 v1, s[2:3], v3, v1, s[2:3]
	v_lshlrev_b32_e32 v2, 1, v38
	v_add_co_u32_e64 v0, s[2:3], v0, v2
	v_addc_co_u32_e64 v1, s[2:3], 0, v1, s[2:3]
	global_load_dwordx4 v[6:9], v[0:1], off
	global_load_dwordx4 v[14:17], v[0:1], off offset:16
	s_waitcnt vmcnt(1)
	v_and_b32_e32 v1, 0xffff0000, v6
	v_lshlrev_b32_e32 v0, 16, v6
	v_and_b32_e32 v3, 0xffff0000, v7
	v_lshlrev_b32_e32 v2, 16, v7
	;; [unrolled: 2-line block ×4, first 2 shown]
	s_waitcnt vmcnt(0)
	v_and_b32_e32 v9, 0xffff0000, v14
	v_lshlrev_b32_e32 v8, 16, v14
	v_and_b32_e32 v11, 0xffff0000, v15
	v_lshlrev_b32_e32 v10, 16, v15
	;; [unrolled: 2-line block ×4, first 2 shown]
	s_and_saveexec_b64 s[2:3], s[0:1]
	s_cbranch_execz .LBB13_6
; %bb.5:
	v_pk_mul_f32 v[16:17], v[0:1], v[0:1]
	v_pk_mul_f32 v[18:19], v[2:3], v[2:3]
	v_add_f32_e32 v16, v16, v17
	v_add_f32_e32 v16, v16, v18
	v_pk_mul_f32 v[20:21], v[4:5], v[4:5]
	v_add_f32_e32 v16, v16, v19
	v_add_f32_e32 v16, v16, v20
	;; [unrolled: 3-line block ×4, first 2 shown]
	v_pk_mul_f32 v[26:27], v[10:11], v[10:11]
	v_add_f32_e32 v16, v16, v25
	v_mbcnt_lo_u32_b32 v17, -1, 0
	v_add_f32_e32 v16, v16, v26
	v_mbcnt_hi_u32_b32 v17, -1, v17
	v_pk_mul_f32 v[28:29], v[12:13], v[12:13]
	v_add_f32_e32 v16, v16, v27
	v_and_b32_e32 v18, 0x60, v17
	v_add_f32_e32 v16, v16, v28
	v_add_u32_e32 v18, 32, v18
	v_xor_b32_e32 v19, 16, v17
	v_pk_mul_f32 v[30:31], v[14:15], v[14:15]
	v_add_f32_e32 v16, v16, v29
	v_cmp_lt_i32_e64 s[0:1], v19, v18
	v_add_f32_e32 v16, v16, v30
	v_cndmask_b32_e64 v19, v17, v19, s[0:1]
	v_add_f32_e32 v16, v16, v31
	v_lshlrev_b32_e32 v19, 2, v19
	ds_bpermute_b32 v19, v19, v16
	s_waitcnt lgkmcnt(0)
	v_add_f32_e32 v16, v16, v19
	v_xor_b32_e32 v19, 8, v17
	v_cmp_lt_i32_e64 s[0:1], v19, v18
	v_cndmask_b32_e64 v19, v17, v19, s[0:1]
	v_lshlrev_b32_e32 v19, 2, v19
	ds_bpermute_b32 v19, v19, v16
	s_waitcnt lgkmcnt(0)
	v_add_f32_e32 v16, v16, v19
	v_xor_b32_e32 v19, 4, v17
	v_cmp_lt_i32_e64 s[0:1], v19, v18
	v_cndmask_b32_e64 v19, v17, v19, s[0:1]
	v_lshlrev_b32_e32 v19, 2, v19
	ds_bpermute_b32 v19, v19, v16
	s_waitcnt lgkmcnt(0)
	v_add_f32_e32 v16, v16, v19
	v_xor_b32_e32 v19, 2, v17
	v_cmp_lt_i32_e64 s[0:1], v19, v18
	v_cndmask_b32_e64 v19, v17, v19, s[0:1]
	v_lshlrev_b32_e32 v19, 2, v19
	ds_bpermute_b32 v19, v19, v16
	s_waitcnt lgkmcnt(0)
	v_add_f32_e32 v16, v16, v19
	v_xor_b32_e32 v19, 1, v17
	v_cmp_lt_i32_e64 s[0:1], v19, v18
	v_cndmask_b32_e64 v17, v17, v19, s[0:1]
	v_lshlrev_b32_e32 v17, 2, v17
	ds_bpermute_b32 v17, v17, v16
	s_mov_b32 s0, 0x800000
	s_waitcnt lgkmcnt(0)
	v_add_f32_e32 v16, v16, v17
	v_mov_b32_e32 v17, s8
	v_fmac_f32_e32 v17, 0x3b000000, v16
	v_mul_f32_e32 v16, 0x4b800000, v17
	v_cmp_gt_f32_e64 s[0:1], s0, v17
	v_cndmask_b32_e64 v16, v17, v16, s[0:1]
	v_rsq_f32_e32 v16, v16
	v_mul_f32_e32 v17, 0x45800000, v16
	v_cndmask_b32_e64 v16, v16, v17, s[0:1]
	v_pk_mul_f32 v[14:15], v[16:17], v[14:15] op_sel_hi:[0,1]
	v_pk_mul_f32 v[12:13], v[16:17], v[12:13] op_sel_hi:[0,1]
	;; [unrolled: 1-line block ×8, first 2 shown]
.LBB13_6:
	s_or_b64 exec, exec, s[2:3]
	s_movk_i32 s0, 0x1bf
	v_cmp_lt_u32_e64 s[0:1], s0, v38
	v_lshlrev_b64 v[36:37], 3, v[32:33]
	s_and_saveexec_b64 s[2:3], s[0:1]
	s_cbranch_execz .LBB13_8
; %bb.7:
	s_load_dwordx4 s[8:11], s[4:5], 0x38
	v_add_u32_e32 v18, 0xfffffe40, v38
	v_mov_b32_e32 v19, 0
	v_lshrrev_b32_e32 v18, 1, v18
	v_lshlrev_b64 v[18:19], 2, v[18:19]
	s_waitcnt lgkmcnt(0)
	v_mov_b32_e32 v17, s9
	v_add_co_u32_e64 v16, s[0:1], s8, v36
	v_addc_co_u32_e64 v17, s[0:1], v17, v37, s[0:1]
	global_load_dwordx2 v[16:17], v[16:17], off
	v_mov_b32_e32 v20, s11
	s_waitcnt vmcnt(0)
	v_lshlrev_b64 v[16:17], 8, v[16:17]
	v_add_co_u32_e64 v16, s[0:1], s10, v16
	v_addc_co_u32_e64 v17, s[0:1], v20, v17, s[0:1]
	v_add_co_u32_e64 v16, s[0:1], v16, v18
	v_addc_co_u32_e64 v17, s[0:1], v17, v19, s[0:1]
	global_load_dwordx4 v[40:43], v[16:17], off offset:128
	global_load_dwordx4 v[44:47], v[16:17], off
	global_load_dwordx4 v[48:51], v[16:17], off offset:144
	global_load_dwordx4 v[52:55], v[16:17], off offset:16
	s_waitcnt vmcnt(3)
	v_mul_f32_e32 v16, v40, v1
	s_waitcnt vmcnt(2)
	v_mul_f32_e32 v17, v44, v1
	v_mul_f32_e32 v1, v41, v3
	v_mul_f32_e32 v19, v45, v3
	v_mul_f32_e32 v3, v42, v5
	v_mul_f32_e32 v21, v46, v5
	v_mul_f32_e32 v5, v43, v7
	v_mul_f32_e32 v23, v47, v7
	s_waitcnt vmcnt(1)
	v_mul_f32_e32 v7, v48, v9
	s_waitcnt vmcnt(0)
	v_mul_f32_e32 v25, v52, v9
	v_mul_f32_e32 v9, v49, v11
	;; [unrolled: 1-line block ×7, first 2 shown]
	v_fma_f32 v16, v44, v0, -v16
	v_fmac_f32_e32 v17, v40, v0
	v_fma_f32 v18, v45, v2, -v1
	v_fmac_f32_e32 v19, v41, v2
	;; [unrolled: 2-line block ×8, first 2 shown]
	v_pk_mov_b32 v[0:1], v[16:17], v[16:17] op_sel:[0,1]
	v_pk_mov_b32 v[2:3], v[18:19], v[18:19] op_sel:[0,1]
	;; [unrolled: 1-line block ×8, first 2 shown]
.LBB13_8:
	s_or_b64 exec, exec, s[2:3]
	s_mov_b64 s[6:7], 0
                                        ; implicit-def: $vgpr19
                                        ; implicit-def: $vgpr20_vgpr21
	s_and_saveexec_b64 s[0:1], vcc
	s_xor_b64 s[2:3], exec, s[0:1]
	s_cbranch_execnz .LBB13_13
; %bb.9:
	s_andn2_saveexec_b64 s[2:3], s[2:3]
	s_cbranch_execnz .LBB13_276
.LBB13_10:
	s_or_b64 exec, exec, s[2:3]
	s_and_b64 exec, exec, s[6:7]
	s_cbranch_execz .LBB13_12
.LBB13_11:
	v_add_co_u32_e32 v0, vcc, v20, v38
	v_addc_co_u32_e32 v1, vcc, 0, v21, vcc
	global_store_dwordx4 v[0:1], v[16:19], off
.LBB13_12:
	s_endpgm
.LBB13_13:
	s_load_dwordx2 s[0:1], s[4:5], 0x30
                                        ; implicit-def: $vgpr19
                                        ; implicit-def: $vgpr20_vgpr21
	s_waitcnt lgkmcnt(0)
	v_mov_b32_e32 v17, s1
	v_add_co_u32_e32 v16, vcc, s0, v36
	v_addc_co_u32_e32 v17, vcc, v17, v37, vcc
	global_load_dwordx2 v[16:17], v[16:17], off
	s_mov_b64 s[0:1], 0
	s_waitcnt vmcnt(0)
	v_cmp_lt_i64_e32 vcc, -1, v[16:17]
	s_and_saveexec_b64 s[6:7], vcc
	s_cbranch_execz .LBB13_275
; %bb.14:
	s_load_dwordx2 s[8:9], s[4:5], 0x48
	s_ashr_i32 s17, s16, 31
	v_or_b32_e32 v19, s17, v17
	v_mov_b32_e32 v18, 0
	v_cmp_ne_u64_e32 vcc, 0, v[18:19]
                                        ; implicit-def: $vgpr18_vgpr19
	s_and_saveexec_b64 s[0:1], vcc
	s_xor_b64 s[10:11], exec, s[0:1]
	s_cbranch_execz .LBB13_16
; %bb.15:
	s_add_u32 s0, s16, s17
	s_mov_b32 s12, s17
	s_mov_b32 s13, s17
	s_addc_u32 s1, s17, s17
	s_xor_b64 s[14:15], s[0:1], s[12:13]
	v_cvt_f32_u32_e32 v18, s14
	v_cvt_f32_u32_e32 v19, s15
	s_sub_u32 s0, 0, s14
	s_subb_u32 s1, 0, s15
	v_madmk_f32 v18, v19, 0x4f800000, v18
	v_rcp_f32_e32 v18, v18
	v_mul_f32_e32 v18, 0x5f7ffffc, v18
	v_mul_f32_e32 v19, 0x2f800000, v18
	v_trunc_f32_e32 v19, v19
	v_madmk_f32 v18, v19, 0xcf800000, v18
	v_cvt_u32_f32_e32 v19, v19
	v_cvt_u32_f32_e32 v18, v18
	v_mul_lo_u32 v20, s0, v19
	v_mul_hi_u32 v22, s0, v18
	v_mul_lo_u32 v21, s1, v18
	v_add_u32_e32 v20, v22, v20
	v_mul_lo_u32 v23, s0, v18
	v_add_u32_e32 v20, v20, v21
	v_mul_lo_u32 v22, v18, v20
	v_mul_hi_u32 v24, v18, v23
	v_mul_hi_u32 v21, v18, v20
	v_add_co_u32_e32 v22, vcc, v24, v22
	v_addc_co_u32_e32 v21, vcc, 0, v21, vcc
	v_mul_hi_u32 v25, v19, v23
	v_mul_lo_u32 v23, v19, v23
	v_add_co_u32_e32 v22, vcc, v22, v23
	v_mul_hi_u32 v24, v19, v20
	v_addc_co_u32_e32 v21, vcc, v21, v25, vcc
	v_addc_co_u32_e32 v22, vcc, 0, v24, vcc
	v_mul_lo_u32 v20, v19, v20
	v_add_co_u32_e32 v20, vcc, v21, v20
	v_addc_co_u32_e32 v21, vcc, 0, v22, vcc
	v_add_co_u32_e32 v18, vcc, v18, v20
	v_addc_co_u32_e32 v19, vcc, v19, v21, vcc
	v_mul_lo_u32 v20, s0, v19
	v_mul_hi_u32 v21, s0, v18
	v_add_u32_e32 v20, v21, v20
	v_mul_lo_u32 v21, s1, v18
	v_add_u32_e32 v20, v20, v21
	v_mul_lo_u32 v22, s0, v18
	v_mul_hi_u32 v23, v19, v22
	v_mul_lo_u32 v24, v19, v22
	v_mul_lo_u32 v26, v18, v20
	v_mul_hi_u32 v22, v18, v22
	v_mul_hi_u32 v25, v18, v20
	v_add_co_u32_e32 v22, vcc, v22, v26
	v_addc_co_u32_e32 v25, vcc, 0, v25, vcc
	v_add_co_u32_e32 v22, vcc, v22, v24
	v_mul_hi_u32 v21, v19, v20
	v_addc_co_u32_e32 v22, vcc, v25, v23, vcc
	v_addc_co_u32_e32 v21, vcc, 0, v21, vcc
	v_mul_lo_u32 v20, v19, v20
	v_add_co_u32_e32 v20, vcc, v22, v20
	v_addc_co_u32_e32 v21, vcc, 0, v21, vcc
	v_add_co_u32_e32 v20, vcc, v18, v20
	v_addc_co_u32_e32 v21, vcc, v19, v21, vcc
	v_ashrrev_i32_e32 v22, 31, v17
	v_add_co_u32_e32 v18, vcc, v16, v22
	v_addc_co_u32_e32 v19, vcc, v17, v22, vcc
	v_xor_b32_e32 v24, v18, v22
	v_xor_b32_e32 v23, v19, v22
	v_mad_u64_u32 v[18:19], s[0:1], v24, v21, 0
	v_mul_hi_u32 v25, v24, v20
	v_add_co_u32_e32 v25, vcc, v25, v18
	v_addc_co_u32_e32 v26, vcc, 0, v19, vcc
	v_mad_u64_u32 v[18:19], s[0:1], v23, v21, 0
	v_mad_u64_u32 v[20:21], s[0:1], v23, v20, 0
	v_add_co_u32_e32 v20, vcc, v25, v20
	v_addc_co_u32_e32 v20, vcc, v26, v21, vcc
	v_addc_co_u32_e32 v19, vcc, 0, v19, vcc
	v_add_co_u32_e32 v20, vcc, v20, v18
	v_addc_co_u32_e32 v21, vcc, 0, v19, vcc
	v_mul_lo_u32 v25, s15, v20
	v_mul_lo_u32 v26, s14, v21
	v_mad_u64_u32 v[18:19], s[0:1], s14, v20, 0
	v_add3_u32 v19, v19, v26, v25
	v_sub_u32_e32 v25, v23, v19
	v_mov_b32_e32 v26, s15
	v_sub_co_u32_e32 v18, vcc, v24, v18
	v_subb_co_u32_e64 v24, s[0:1], v25, v26, vcc
	v_subrev_co_u32_e64 v25, s[0:1], s14, v18
	v_subbrev_co_u32_e64 v24, s[0:1], 0, v24, s[0:1]
	v_cmp_le_u32_e64 s[0:1], s15, v24
	v_cndmask_b32_e64 v26, 0, -1, s[0:1]
	v_cmp_le_u32_e64 s[0:1], s14, v25
	v_cndmask_b32_e64 v25, 0, -1, s[0:1]
	v_cmp_eq_u32_e64 s[0:1], s15, v24
	v_cndmask_b32_e64 v24, v26, v25, s[0:1]
	v_add_co_u32_e64 v25, s[0:1], 2, v20
	v_subb_co_u32_e32 v19, vcc, v23, v19, vcc
	v_addc_co_u32_e64 v26, s[0:1], 0, v21, s[0:1]
	v_cmp_le_u32_e32 vcc, s15, v19
	v_add_co_u32_e64 v27, s[0:1], 1, v20
	v_cndmask_b32_e64 v23, 0, -1, vcc
	v_cmp_le_u32_e32 vcc, s14, v18
	v_addc_co_u32_e64 v28, s[0:1], 0, v21, s[0:1]
	v_cndmask_b32_e64 v18, 0, -1, vcc
	v_cmp_eq_u32_e32 vcc, s15, v19
	v_cmp_ne_u32_e64 s[0:1], 0, v24
	v_cndmask_b32_e32 v18, v23, v18, vcc
	v_cndmask_b32_e64 v24, v28, v26, s[0:1]
	v_cmp_ne_u32_e32 vcc, 0, v18
	v_cndmask_b32_e64 v19, v27, v25, s[0:1]
	v_cndmask_b32_e32 v18, v21, v24, vcc
	v_cndmask_b32_e32 v19, v20, v19, vcc
	v_xor_b32_e32 v20, s13, v22
	v_xor_b32_e32 v21, s12, v22
	;; [unrolled: 1-line block ×4, first 2 shown]
	v_sub_co_u32_e32 v18, vcc, v18, v21
	v_subb_co_u32_e32 v19, vcc, v22, v20, vcc
.LBB13_16:
	s_andn2_saveexec_b64 s[0:1], s[10:11]
	s_cbranch_execz .LBB13_18
; %bb.17:
	v_cvt_f32_u32_e32 v18, s16
	s_sub_i32 s10, 0, s16
	v_rcp_iflag_f32_e32 v18, v18
	v_mul_f32_e32 v18, 0x4f7ffffe, v18
	v_cvt_u32_f32_e32 v18, v18
	v_mul_lo_u32 v19, s10, v18
	v_mul_hi_u32 v19, v18, v19
	v_add_u32_e32 v18, v18, v19
	v_mul_hi_u32 v18, v16, v18
	v_mul_lo_u32 v19, v18, s16
	v_sub_u32_e32 v19, v16, v19
	v_add_u32_e32 v20, 1, v18
	v_subrev_u32_e32 v21, s16, v19
	v_cmp_le_u32_e32 vcc, s16, v19
	v_cndmask_b32_e32 v19, v19, v21, vcc
	v_cndmask_b32_e32 v18, v18, v20, vcc
	v_add_u32_e32 v20, 1, v18
	v_cmp_le_u32_e32 vcc, s16, v19
	v_cndmask_b32_e32 v18, v18, v20, vcc
	v_mov_b32_e32 v19, 0
.LBB13_18:
	s_or_b64 exec, exec, s[0:1]
	s_waitcnt lgkmcnt(0)
	s_load_dword s8, s[8:9], 0x0
	v_mov_b32_e32 v21, 0
	v_mov_b32_e32 v27, v21
	s_waitcnt lgkmcnt(0)
	v_div_scale_f32 v20, s[0:1], s8, s8, 1.0
	v_rcp_f32_e32 v22, v20
	v_div_scale_f32 v23, vcc, 1.0, s8, 1.0
	s_movk_i32 s0, 0x80
	v_fma_f32 v24, -v20, v22, 1.0
	v_fmac_f32_e32 v22, v24, v22
	v_mul_f32_e32 v24, v23, v22
	v_fma_f32 v25, -v20, v24, v23
	v_fmac_f32_e32 v24, v25, v22
	v_fma_f32 v20, -v20, v24, v23
	v_div_fmas_f32 v20, v20, v22, v24
	v_div_fixup_f32 v23, v20, s8, 1.0
	v_mul_f32_e32 v0, v0, v23
	v_max_f32_e32 v0, 0xc3e00000, v0
	v_min_f32_e32 v24, 0x43e00000, v0
	v_and_b32_sdwa v0, v24, s0 dst_sel:DWORD dst_unused:UNUSED_PAD src0_sel:BYTE_3 src1_sel:DWORD
	v_and_b32_e32 v26, 0x7f800000, v24
	s_mov_b64 s[0:1], 0x7f800000
	v_and_b32_e32 v20, 0x7fffff, v24
	v_or_b32_e32 v22, 0x7e, v0
	v_cmp_ne_u64_e32 vcc, s[0:1], v[26:27]
	s_and_saveexec_b64 s[0:1], vcc
	s_xor_b64 s[8:9], exec, s[0:1]
	s_cbranch_execz .LBB13_32
; %bb.19:
	v_and_b32_e32 v26, 0x7fffffff, v24
	v_mov_b32_e32 v27, v21
	s_mov_b64 s[0:1], 0x43e00001
	v_cmp_gt_u64_e32 vcc, s[0:1], v[26:27]
	s_and_saveexec_b64 s[0:1], vcc
	s_xor_b64 s[10:11], exec, s[0:1]
	s_cbranch_execz .LBB13_31
; %bb.20:
	v_cmp_ne_u32_e32 vcc, 0, v24
	v_mov_b32_e32 v22, 0
	s_and_saveexec_b64 s[12:13], vcc
	s_cbranch_execz .LBB13_30
; %bb.21:
	v_bfe_u32 v22, v24, 23, 8
	s_movk_i32 s0, 0x7a
	v_sub_u32_e32 v25, 0x79, v22
	v_cmp_gt_u32_e32 vcc, s0, v22
	v_add_u32_e32 v24, 0xffffff81, v22
	v_cndmask_b32_e32 v25, 0, v25, vcc
	v_mov_b32_e32 v27, 0xffffff82
	v_cmp_eq_u32_e32 vcc, 0, v22
	v_cndmask_b32_e32 v22, v24, v27, vcc
	v_mov_b32_e32 v24, 0x78
	v_cndmask_b32_e32 v30, v25, v24, vcc
	v_add_u32_e32 v24, 20, v30
	v_or_b32_e32 v26, 0x800000, v20
	v_lshlrev_b64 v[24:25], v24, -1
	v_cndmask_b32_e32 v20, v26, v20, vcc
	v_not_b32_e32 v24, v24
	v_and_b32_e32 v26, v20, v24
	v_add_u32_e32 v24, 19, v30
	v_lshrrev_b64 v[20:21], v30, v[20:21]
	v_not_b32_e32 v25, v25
	v_lshlrev_b64 v[28:29], v24, 1
	v_lshrrev_b32_e32 v24, 23, v20
	v_and_b32_e32 v27, 0, v25
	v_add3_u32 v25, v30, v22, v24
	v_bfe_u32 v24, v20, 20, 1
	v_add_u32_e32 v24, -1, v24
	v_cmp_eq_u64_e32 vcc, v[26:27], v[28:29]
	v_cndmask_b32_e32 v24, 0, v24, vcc
	v_add_u32_e32 v24, v24, v20
	v_and_b32_e32 v24, 0xfffff, v24
	v_add_co_u32_e32 v20, vcc, v24, v20
	v_add_u32_e32 v22, 6, v25
	v_addc_co_u32_e32 v21, vcc, 0, v21, vcc
	v_cmp_ne_u32_e32 vcc, 0, v22
                                        ; implicit-def: $vgpr24
	s_and_saveexec_b64 s[0:1], vcc
	s_xor_b64 s[0:1], exec, s[0:1]
; %bb.22:
	s_mov_b64 s[14:15], 0xffffff
	v_add_u32_e32 v24, 7, v25
	v_cmp_lt_u64_e32 vcc, s[14:15], v[20:21]
	v_cndmask_b32_e32 v24, v22, v24, vcc
	v_cndmask_b32_e64 v22, 0, 1, vcc
	v_lshrrev_b64 v[20:21], v22, v[20:21]
; %bb.23:
	s_andn2_saveexec_b64 s[0:1], s[0:1]
; %bb.24:
	v_bfe_u32 v24, v20, 23, 1
; %bb.25:
	s_or_b64 exec, exec, s[0:1]
	v_lshrrev_b64 v[20:21], 20, v[20:21]
	v_cmp_gt_i32_e32 vcc, 16, v24
	v_cndmask_b32_e32 v21, 0, v21, vcc
	v_cndmask_b32_e32 v20, 7, v20, vcc
	v_cmp_ne_u32_e32 vcc, 0, v24
	v_cmp_ne_u64_e64 s[0:1], 0, v[20:21]
	s_or_b64 s[0:1], vcc, s[0:1]
                                        ; implicit-def: $vgpr22
	s_and_saveexec_b64 s[14:15], s[0:1]
	s_xor_b64 s[0:1], exec, s[14:15]
; %bb.26:
	v_min_i32_e32 v21, 15, v24
	v_lshl_or_b32 v0, v21, 3, v0
	v_and_or_b32 v22, v20, 7, v0
                                        ; implicit-def: $vgpr0
; %bb.27:
	s_andn2_saveexec_b64 s[0:1], s[0:1]
; %bb.28:
	v_mov_b32_e32 v22, v0
; %bb.29:
	s_or_b64 exec, exec, s[0:1]
.LBB13_30:
	s_or_b64 exec, exec, s[12:13]
.LBB13_31:
	s_andn2_saveexec_b64 s[0:1], s[10:11]
	s_or_b64 exec, exec, s[0:1]
                                        ; implicit-def: $vgpr24
                                        ; implicit-def: $vgpr20_vgpr21
.LBB13_32:
	s_andn2_saveexec_b64 s[0:1], s[8:9]
; %bb.33:
	s_movk_i32 s8, 0x7f
	v_or_b32_sdwa v0, v24, s8 dst_sel:DWORD dst_unused:UNUSED_PAD src0_sel:BYTE_3 src1_sel:DWORD
	v_cmp_eq_u64_e32 vcc, 0, v[20:21]
	v_cndmask_b32_e32 v22, v0, v22, vcc
; %bb.34:
	s_or_b64 exec, exec, s[0:1]
	v_mul_f32_e32 v0, v1, v23
	v_max_f32_e32 v0, 0xc3e00000, v0
	v_min_f32_e32 v21, 0x43e00000, v0
	v_mov_b32_e32 v1, 0
	s_movk_i32 s0, 0x80
	v_and_b32_sdwa v20, v21, s0 dst_sel:DWORD dst_unused:UNUSED_PAD src0_sel:BYTE_3 src1_sel:DWORD
	v_and_b32_e32 v26, 0x7f800000, v21
	v_mov_b32_e32 v27, v1
	s_mov_b64 s[0:1], 0x7f800000
	v_and_b32_e32 v0, 0x7fffff, v21
	v_or_b32_e32 v24, 0x7e, v20
	v_cmp_ne_u64_e32 vcc, s[0:1], v[26:27]
	s_and_saveexec_b64 s[0:1], vcc
	s_xor_b64 s[8:9], exec, s[0:1]
	s_cbranch_execz .LBB13_48
; %bb.35:
	v_and_b32_e32 v26, 0x7fffffff, v21
	v_mov_b32_e32 v27, v1
	s_mov_b64 s[0:1], 0x43e00001
	v_cmp_gt_u64_e32 vcc, s[0:1], v[26:27]
	s_and_saveexec_b64 s[0:1], vcc
	s_xor_b64 s[10:11], exec, s[0:1]
	s_cbranch_execz .LBB13_47
; %bb.36:
	v_cmp_ne_u32_e32 vcc, 0, v21
	v_mov_b32_e32 v24, 0
	s_and_saveexec_b64 s[12:13], vcc
	s_cbranch_execz .LBB13_46
; %bb.37:
	v_bfe_u32 v21, v21, 23, 8
	s_movk_i32 s0, 0x7a
	v_sub_u32_e32 v25, 0x79, v21
	v_cmp_gt_u32_e32 vcc, s0, v21
	v_add_u32_e32 v24, 0xffffff81, v21
	v_cndmask_b32_e32 v25, 0, v25, vcc
	v_mov_b32_e32 v27, 0xffffff82
	v_cmp_eq_u32_e32 vcc, 0, v21
	v_cndmask_b32_e32 v21, v24, v27, vcc
	v_mov_b32_e32 v24, 0x78
	v_cndmask_b32_e32 v30, v25, v24, vcc
	v_add_u32_e32 v24, 20, v30
	v_or_b32_e32 v26, 0x800000, v0
	v_lshlrev_b64 v[24:25], v24, -1
	v_cndmask_b32_e32 v0, v26, v0, vcc
	v_not_b32_e32 v24, v24
	v_and_b32_e32 v26, v0, v24
	v_add_u32_e32 v24, 19, v30
	v_lshrrev_b64 v[0:1], v30, v[0:1]
	v_not_b32_e32 v25, v25
	v_lshlrev_b64 v[28:29], v24, 1
	v_lshrrev_b32_e32 v24, 23, v0
	v_and_b32_e32 v27, 0, v25
	v_add3_u32 v25, v30, v21, v24
	v_bfe_u32 v21, v0, 20, 1
	v_add_u32_e32 v21, -1, v21
	v_cmp_eq_u64_e32 vcc, v[26:27], v[28:29]
	v_cndmask_b32_e32 v21, 0, v21, vcc
	v_add_u32_e32 v21, v21, v0
	v_and_b32_e32 v21, 0xfffff, v21
	v_add_co_u32_e32 v0, vcc, v21, v0
	v_add_u32_e32 v24, 6, v25
	v_addc_co_u32_e32 v1, vcc, 0, v1, vcc
	v_cmp_ne_u32_e32 vcc, 0, v24
                                        ; implicit-def: $vgpr21
	s_and_saveexec_b64 s[0:1], vcc
	s_xor_b64 s[0:1], exec, s[0:1]
; %bb.38:
	s_mov_b64 s[14:15], 0xffffff
	v_add_u32_e32 v21, 7, v25
	v_cmp_lt_u64_e32 vcc, s[14:15], v[0:1]
	v_cndmask_b32_e32 v21, v24, v21, vcc
	v_cndmask_b32_e64 v24, 0, 1, vcc
	v_lshrrev_b64 v[0:1], v24, v[0:1]
; %bb.39:
	s_andn2_saveexec_b64 s[0:1], s[0:1]
; %bb.40:
	v_bfe_u32 v21, v0, 23, 1
; %bb.41:
	s_or_b64 exec, exec, s[0:1]
	v_lshrrev_b64 v[0:1], 20, v[0:1]
	v_cmp_gt_i32_e32 vcc, 16, v21
	v_cndmask_b32_e32 v1, 0, v1, vcc
	v_cndmask_b32_e32 v0, 7, v0, vcc
	v_cmp_ne_u32_e32 vcc, 0, v21
	v_cmp_ne_u64_e64 s[0:1], 0, v[0:1]
	s_or_b64 s[0:1], vcc, s[0:1]
                                        ; implicit-def: $vgpr24
	s_and_saveexec_b64 s[14:15], s[0:1]
	s_xor_b64 s[0:1], exec, s[14:15]
; %bb.42:
	v_min_i32_e32 v1, 15, v21
	v_lshl_or_b32 v1, v1, 3, v20
	v_and_or_b32 v24, v0, 7, v1
                                        ; implicit-def: $vgpr20
; %bb.43:
	s_andn2_saveexec_b64 s[0:1], s[0:1]
; %bb.44:
	v_mov_b32_e32 v24, v20
; %bb.45:
	s_or_b64 exec, exec, s[0:1]
.LBB13_46:
	s_or_b64 exec, exec, s[12:13]
.LBB13_47:
	s_andn2_saveexec_b64 s[0:1], s[10:11]
	s_or_b64 exec, exec, s[0:1]
                                        ; implicit-def: $vgpr21
                                        ; implicit-def: $vgpr0_vgpr1
.LBB13_48:
	s_andn2_saveexec_b64 s[0:1], s[8:9]
; %bb.49:
	s_movk_i32 s8, 0x7f
	v_or_b32_sdwa v20, v21, s8 dst_sel:DWORD dst_unused:UNUSED_PAD src0_sel:BYTE_3 src1_sel:DWORD
	v_cmp_eq_u64_e32 vcc, 0, v[0:1]
	v_cndmask_b32_e32 v24, v20, v24, vcc
; %bb.50:
	s_or_b64 exec, exec, s[0:1]
	v_mul_f32_e32 v0, v2, v23
	v_max_f32_e32 v0, 0xc3e00000, v0
	v_min_f32_e32 v21, 0x43e00000, v0
	v_mov_b32_e32 v1, 0
	s_movk_i32 s0, 0x80
	v_and_b32_sdwa v20, v21, s0 dst_sel:DWORD dst_unused:UNUSED_PAD src0_sel:BYTE_3 src1_sel:DWORD
	v_and_b32_e32 v26, 0x7f800000, v21
	v_mov_b32_e32 v27, v1
	s_mov_b64 s[0:1], 0x7f800000
	v_and_b32_e32 v0, 0x7fffff, v21
	v_or_b32_e32 v2, 0x7e, v20
	v_cmp_ne_u64_e32 vcc, s[0:1], v[26:27]
	s_and_saveexec_b64 s[0:1], vcc
	s_xor_b64 s[8:9], exec, s[0:1]
	s_cbranch_execz .LBB13_64
; %bb.51:
	v_and_b32_e32 v26, 0x7fffffff, v21
	v_mov_b32_e32 v27, v1
	s_mov_b64 s[0:1], 0x43e00001
	v_cmp_gt_u64_e32 vcc, s[0:1], v[26:27]
	s_and_saveexec_b64 s[0:1], vcc
	s_xor_b64 s[10:11], exec, s[0:1]
	s_cbranch_execz .LBB13_63
; %bb.52:
	v_cmp_ne_u32_e32 vcc, 0, v21
	v_mov_b32_e32 v2, 0
	s_and_saveexec_b64 s[12:13], vcc
	s_cbranch_execz .LBB13_62
; %bb.53:
	v_bfe_u32 v2, v21, 23, 8
	s_movk_i32 s0, 0x7a
	v_sub_u32_e32 v25, 0x79, v2
	v_cmp_gt_u32_e32 vcc, s0, v2
	v_add_u32_e32 v21, 0xffffff81, v2
	v_cndmask_b32_e32 v25, 0, v25, vcc
	v_mov_b32_e32 v27, 0xffffff82
	v_cmp_eq_u32_e32 vcc, 0, v2
	v_cndmask_b32_e32 v2, v21, v27, vcc
	v_mov_b32_e32 v21, 0x78
	v_cndmask_b32_e32 v21, v25, v21, vcc
	v_or_b32_e32 v26, 0x800000, v0
	v_add_u32_e32 v25, 20, v21
	v_cndmask_b32_e32 v0, v26, v0, vcc
	v_lshlrev_b64 v[26:27], v25, -1
	v_not_b32_e32 v25, v27
	v_not_b32_e32 v26, v26
	v_and_b32_e32 v27, 0, v25
	v_and_b32_e32 v26, v0, v26
	v_add_u32_e32 v25, 19, v21
	v_lshrrev_b64 v[0:1], v21, v[0:1]
	v_lshlrev_b64 v[28:29], v25, 1
	v_lshrrev_b32_e32 v25, 23, v0
	v_add3_u32 v25, v21, v2, v25
	v_bfe_u32 v21, v0, 20, 1
	v_add_u32_e32 v21, -1, v21
	v_cmp_eq_u64_e32 vcc, v[26:27], v[28:29]
	v_cndmask_b32_e32 v21, 0, v21, vcc
	v_add_u32_e32 v21, v21, v0
	v_and_b32_e32 v21, 0xfffff, v21
	v_add_co_u32_e32 v0, vcc, v21, v0
	v_add_u32_e32 v2, 6, v25
	v_addc_co_u32_e32 v1, vcc, 0, v1, vcc
	v_cmp_ne_u32_e32 vcc, 0, v2
                                        ; implicit-def: $vgpr21
	s_and_saveexec_b64 s[0:1], vcc
	s_xor_b64 s[0:1], exec, s[0:1]
; %bb.54:
	s_mov_b64 s[14:15], 0xffffff
	v_add_u32_e32 v21, 7, v25
	v_cmp_lt_u64_e32 vcc, s[14:15], v[0:1]
	v_cndmask_b32_e32 v21, v2, v21, vcc
	v_cndmask_b32_e64 v2, 0, 1, vcc
	v_lshrrev_b64 v[0:1], v2, v[0:1]
; %bb.55:
	s_andn2_saveexec_b64 s[0:1], s[0:1]
; %bb.56:
	v_bfe_u32 v21, v0, 23, 1
; %bb.57:
	s_or_b64 exec, exec, s[0:1]
	v_lshrrev_b64 v[0:1], 20, v[0:1]
	v_cmp_gt_i32_e32 vcc, 16, v21
	v_cndmask_b32_e32 v1, 0, v1, vcc
	v_cndmask_b32_e32 v0, 7, v0, vcc
	v_cmp_ne_u32_e32 vcc, 0, v21
	v_cmp_ne_u64_e64 s[0:1], 0, v[0:1]
	s_or_b64 s[0:1], vcc, s[0:1]
                                        ; implicit-def: $vgpr2
	s_and_saveexec_b64 s[14:15], s[0:1]
	s_xor_b64 s[0:1], exec, s[14:15]
; %bb.58:
	v_min_i32_e32 v1, 15, v21
	v_lshl_or_b32 v1, v1, 3, v20
	v_and_or_b32 v2, v0, 7, v1
                                        ; implicit-def: $vgpr20
; %bb.59:
	s_andn2_saveexec_b64 s[0:1], s[0:1]
; %bb.60:
	v_mov_b32_e32 v2, v20
; %bb.61:
	s_or_b64 exec, exec, s[0:1]
.LBB13_62:
	s_or_b64 exec, exec, s[12:13]
.LBB13_63:
	s_andn2_saveexec_b64 s[0:1], s[10:11]
	s_or_b64 exec, exec, s[0:1]
                                        ; implicit-def: $vgpr21
                                        ; implicit-def: $vgpr0_vgpr1
.LBB13_64:
	s_andn2_saveexec_b64 s[0:1], s[8:9]
; %bb.65:
	s_movk_i32 s8, 0x7f
	v_or_b32_sdwa v20, v21, s8 dst_sel:DWORD dst_unused:UNUSED_PAD src0_sel:BYTE_3 src1_sel:DWORD
	v_cmp_eq_u64_e32 vcc, 0, v[0:1]
	v_cndmask_b32_e32 v2, v20, v2, vcc
; %bb.66:
	s_or_b64 exec, exec, s[0:1]
	v_mul_f32_e32 v0, v3, v23
	v_max_f32_e32 v0, 0xc3e00000, v0
	v_min_f32_e32 v21, 0x43e00000, v0
	v_mov_b32_e32 v1, 0
	s_movk_i32 s0, 0x80
	v_and_b32_sdwa v20, v21, s0 dst_sel:DWORD dst_unused:UNUSED_PAD src0_sel:BYTE_3 src1_sel:DWORD
	v_and_b32_e32 v26, 0x7f800000, v21
	v_mov_b32_e32 v27, v1
	s_mov_b64 s[0:1], 0x7f800000
	v_and_b32_e32 v0, 0x7fffff, v21
	v_or_b32_e32 v3, 0x7e, v20
	v_cmp_ne_u64_e32 vcc, s[0:1], v[26:27]
	s_and_saveexec_b64 s[0:1], vcc
	s_xor_b64 s[8:9], exec, s[0:1]
	s_cbranch_execz .LBB13_80
; %bb.67:
	v_and_b32_e32 v26, 0x7fffffff, v21
	v_mov_b32_e32 v27, v1
	s_mov_b64 s[0:1], 0x43e00001
	v_cmp_gt_u64_e32 vcc, s[0:1], v[26:27]
	s_and_saveexec_b64 s[0:1], vcc
	s_xor_b64 s[10:11], exec, s[0:1]
	s_cbranch_execz .LBB13_79
; %bb.68:
	v_cmp_ne_u32_e32 vcc, 0, v21
	v_mov_b32_e32 v3, 0
	s_and_saveexec_b64 s[12:13], vcc
	s_cbranch_execz .LBB13_78
; %bb.69:
	v_bfe_u32 v3, v21, 23, 8
	s_movk_i32 s0, 0x7a
	v_sub_u32_e32 v25, 0x79, v3
	v_cmp_gt_u32_e32 vcc, s0, v3
	v_add_u32_e32 v21, 0xffffff81, v3
	v_cndmask_b32_e32 v25, 0, v25, vcc
	v_mov_b32_e32 v27, 0xffffff82
	v_cmp_eq_u32_e32 vcc, 0, v3
	v_cndmask_b32_e32 v3, v21, v27, vcc
	v_mov_b32_e32 v21, 0x78
	v_cndmask_b32_e32 v21, v25, v21, vcc
	v_or_b32_e32 v26, 0x800000, v0
	v_add_u32_e32 v25, 20, v21
	v_cndmask_b32_e32 v0, v26, v0, vcc
	v_lshlrev_b64 v[26:27], v25, -1
	v_not_b32_e32 v25, v27
	v_not_b32_e32 v26, v26
	v_and_b32_e32 v27, 0, v25
	v_and_b32_e32 v26, v0, v26
	v_add_u32_e32 v25, 19, v21
	v_lshrrev_b64 v[0:1], v21, v[0:1]
	v_lshlrev_b64 v[28:29], v25, 1
	v_lshrrev_b32_e32 v25, 23, v0
	v_add3_u32 v25, v21, v3, v25
	v_bfe_u32 v21, v0, 20, 1
	v_add_u32_e32 v21, -1, v21
	v_cmp_eq_u64_e32 vcc, v[26:27], v[28:29]
	v_cndmask_b32_e32 v21, 0, v21, vcc
	v_add_u32_e32 v21, v21, v0
	v_and_b32_e32 v21, 0xfffff, v21
	v_add_co_u32_e32 v0, vcc, v21, v0
	v_add_u32_e32 v3, 6, v25
	v_addc_co_u32_e32 v1, vcc, 0, v1, vcc
	v_cmp_ne_u32_e32 vcc, 0, v3
                                        ; implicit-def: $vgpr21
	s_and_saveexec_b64 s[0:1], vcc
	s_xor_b64 s[0:1], exec, s[0:1]
; %bb.70:
	s_mov_b64 s[14:15], 0xffffff
	v_add_u32_e32 v21, 7, v25
	v_cmp_lt_u64_e32 vcc, s[14:15], v[0:1]
	v_cndmask_b32_e32 v21, v3, v21, vcc
	v_cndmask_b32_e64 v3, 0, 1, vcc
	v_lshrrev_b64 v[0:1], v3, v[0:1]
; %bb.71:
	s_andn2_saveexec_b64 s[0:1], s[0:1]
; %bb.72:
	v_bfe_u32 v21, v0, 23, 1
; %bb.73:
	s_or_b64 exec, exec, s[0:1]
	v_lshrrev_b64 v[0:1], 20, v[0:1]
	v_cmp_gt_i32_e32 vcc, 16, v21
	v_cndmask_b32_e32 v1, 0, v1, vcc
	v_cndmask_b32_e32 v0, 7, v0, vcc
	v_cmp_ne_u32_e32 vcc, 0, v21
	v_cmp_ne_u64_e64 s[0:1], 0, v[0:1]
	s_or_b64 s[0:1], vcc, s[0:1]
                                        ; implicit-def: $vgpr3
	s_and_saveexec_b64 s[14:15], s[0:1]
	s_xor_b64 s[0:1], exec, s[14:15]
; %bb.74:
	v_min_i32_e32 v1, 15, v21
	v_lshl_or_b32 v1, v1, 3, v20
	v_and_or_b32 v3, v0, 7, v1
                                        ; implicit-def: $vgpr20
; %bb.75:
	s_andn2_saveexec_b64 s[0:1], s[0:1]
; %bb.76:
	v_mov_b32_e32 v3, v20
; %bb.77:
	s_or_b64 exec, exec, s[0:1]
.LBB13_78:
	s_or_b64 exec, exec, s[12:13]
.LBB13_79:
	s_andn2_saveexec_b64 s[0:1], s[10:11]
	s_or_b64 exec, exec, s[0:1]
                                        ; implicit-def: $vgpr21
                                        ; implicit-def: $vgpr0_vgpr1
.LBB13_80:
	s_andn2_saveexec_b64 s[0:1], s[8:9]
; %bb.81:
	s_movk_i32 s8, 0x7f
	v_or_b32_sdwa v20, v21, s8 dst_sel:DWORD dst_unused:UNUSED_PAD src0_sel:BYTE_3 src1_sel:DWORD
	v_cmp_eq_u64_e32 vcc, 0, v[0:1]
	v_cndmask_b32_e32 v3, v20, v3, vcc
; %bb.82:
	s_or_b64 exec, exec, s[0:1]
	v_mul_f32_e32 v0, v4, v23
	v_max_f32_e32 v0, 0xc3e00000, v0
	v_min_f32_e32 v21, 0x43e00000, v0
	v_mov_b32_e32 v1, 0
	s_movk_i32 s0, 0x80
	v_and_b32_sdwa v20, v21, s0 dst_sel:DWORD dst_unused:UNUSED_PAD src0_sel:BYTE_3 src1_sel:DWORD
	v_and_b32_e32 v26, 0x7f800000, v21
	v_mov_b32_e32 v27, v1
	s_mov_b64 s[0:1], 0x7f800000
	v_and_b32_e32 v0, 0x7fffff, v21
	v_or_b32_e32 v4, 0x7e, v20
	v_cmp_ne_u64_e32 vcc, s[0:1], v[26:27]
	s_and_saveexec_b64 s[0:1], vcc
	s_xor_b64 s[8:9], exec, s[0:1]
	s_cbranch_execz .LBB13_96
; %bb.83:
	v_and_b32_e32 v26, 0x7fffffff, v21
	v_mov_b32_e32 v27, v1
	s_mov_b64 s[0:1], 0x43e00001
	v_cmp_gt_u64_e32 vcc, s[0:1], v[26:27]
	s_and_saveexec_b64 s[0:1], vcc
	s_xor_b64 s[10:11], exec, s[0:1]
	s_cbranch_execz .LBB13_95
; %bb.84:
	v_cmp_ne_u32_e32 vcc, 0, v21
	v_mov_b32_e32 v4, 0
	s_and_saveexec_b64 s[12:13], vcc
	s_cbranch_execz .LBB13_94
; %bb.85:
	v_bfe_u32 v4, v21, 23, 8
	s_movk_i32 s0, 0x7a
	v_sub_u32_e32 v25, 0x79, v4
	v_cmp_gt_u32_e32 vcc, s0, v4
	v_add_u32_e32 v21, 0xffffff81, v4
	v_cndmask_b32_e32 v25, 0, v25, vcc
	v_mov_b32_e32 v27, 0xffffff82
	v_cmp_eq_u32_e32 vcc, 0, v4
	v_cndmask_b32_e32 v4, v21, v27, vcc
	v_mov_b32_e32 v21, 0x78
	v_cndmask_b32_e32 v21, v25, v21, vcc
	v_or_b32_e32 v26, 0x800000, v0
	v_add_u32_e32 v25, 20, v21
	v_cndmask_b32_e32 v0, v26, v0, vcc
	v_lshlrev_b64 v[26:27], v25, -1
	v_not_b32_e32 v25, v27
	v_not_b32_e32 v26, v26
	v_and_b32_e32 v27, 0, v25
	v_and_b32_e32 v26, v0, v26
	v_add_u32_e32 v25, 19, v21
	v_lshrrev_b64 v[0:1], v21, v[0:1]
	v_lshlrev_b64 v[28:29], v25, 1
	v_lshrrev_b32_e32 v25, 23, v0
	v_add3_u32 v25, v21, v4, v25
	v_bfe_u32 v21, v0, 20, 1
	v_add_u32_e32 v21, -1, v21
	v_cmp_eq_u64_e32 vcc, v[26:27], v[28:29]
	v_cndmask_b32_e32 v21, 0, v21, vcc
	v_add_u32_e32 v21, v21, v0
	v_and_b32_e32 v21, 0xfffff, v21
	v_add_co_u32_e32 v0, vcc, v21, v0
	v_add_u32_e32 v4, 6, v25
	v_addc_co_u32_e32 v1, vcc, 0, v1, vcc
	v_cmp_ne_u32_e32 vcc, 0, v4
                                        ; implicit-def: $vgpr21
	s_and_saveexec_b64 s[0:1], vcc
	s_xor_b64 s[0:1], exec, s[0:1]
; %bb.86:
	s_mov_b64 s[14:15], 0xffffff
	v_add_u32_e32 v21, 7, v25
	v_cmp_lt_u64_e32 vcc, s[14:15], v[0:1]
	v_cndmask_b32_e32 v21, v4, v21, vcc
	v_cndmask_b32_e64 v4, 0, 1, vcc
	v_lshrrev_b64 v[0:1], v4, v[0:1]
; %bb.87:
	s_andn2_saveexec_b64 s[0:1], s[0:1]
; %bb.88:
	v_bfe_u32 v21, v0, 23, 1
; %bb.89:
	s_or_b64 exec, exec, s[0:1]
	v_lshrrev_b64 v[0:1], 20, v[0:1]
	v_cmp_gt_i32_e32 vcc, 16, v21
	v_cndmask_b32_e32 v1, 0, v1, vcc
	v_cndmask_b32_e32 v0, 7, v0, vcc
	v_cmp_ne_u32_e32 vcc, 0, v21
	v_cmp_ne_u64_e64 s[0:1], 0, v[0:1]
	s_or_b64 s[0:1], vcc, s[0:1]
                                        ; implicit-def: $vgpr4
	s_and_saveexec_b64 s[14:15], s[0:1]
	s_xor_b64 s[0:1], exec, s[14:15]
; %bb.90:
	v_min_i32_e32 v1, 15, v21
	v_lshl_or_b32 v1, v1, 3, v20
	v_and_or_b32 v4, v0, 7, v1
                                        ; implicit-def: $vgpr20
; %bb.91:
	s_andn2_saveexec_b64 s[0:1], s[0:1]
; %bb.92:
	v_mov_b32_e32 v4, v20
; %bb.93:
	s_or_b64 exec, exec, s[0:1]
.LBB13_94:
	s_or_b64 exec, exec, s[12:13]
.LBB13_95:
	s_andn2_saveexec_b64 s[0:1], s[10:11]
	s_or_b64 exec, exec, s[0:1]
                                        ; implicit-def: $vgpr21
                                        ; implicit-def: $vgpr0_vgpr1
.LBB13_96:
	s_andn2_saveexec_b64 s[0:1], s[8:9]
; %bb.97:
	s_movk_i32 s8, 0x7f
	v_or_b32_sdwa v20, v21, s8 dst_sel:DWORD dst_unused:UNUSED_PAD src0_sel:BYTE_3 src1_sel:DWORD
	v_cmp_eq_u64_e32 vcc, 0, v[0:1]
	v_cndmask_b32_e32 v4, v20, v4, vcc
; %bb.98:
	s_or_b64 exec, exec, s[0:1]
	v_mul_f32_e32 v0, v5, v23
	v_max_f32_e32 v0, 0xc3e00000, v0
	v_min_f32_e32 v21, 0x43e00000, v0
	v_mov_b32_e32 v1, 0
	s_movk_i32 s0, 0x80
	v_and_b32_sdwa v20, v21, s0 dst_sel:DWORD dst_unused:UNUSED_PAD src0_sel:BYTE_3 src1_sel:DWORD
	v_and_b32_e32 v26, 0x7f800000, v21
	v_mov_b32_e32 v27, v1
	s_mov_b64 s[0:1], 0x7f800000
	v_and_b32_e32 v0, 0x7fffff, v21
	v_or_b32_e32 v5, 0x7e, v20
	v_cmp_ne_u64_e32 vcc, s[0:1], v[26:27]
	s_and_saveexec_b64 s[0:1], vcc
	s_xor_b64 s[8:9], exec, s[0:1]
	s_cbranch_execz .LBB13_112
; %bb.99:
	v_and_b32_e32 v26, 0x7fffffff, v21
	v_mov_b32_e32 v27, v1
	s_mov_b64 s[0:1], 0x43e00001
	v_cmp_gt_u64_e32 vcc, s[0:1], v[26:27]
	s_and_saveexec_b64 s[0:1], vcc
	s_xor_b64 s[10:11], exec, s[0:1]
	s_cbranch_execz .LBB13_111
; %bb.100:
	v_cmp_ne_u32_e32 vcc, 0, v21
	v_mov_b32_e32 v5, 0
	s_and_saveexec_b64 s[12:13], vcc
	s_cbranch_execz .LBB13_110
; %bb.101:
	v_bfe_u32 v5, v21, 23, 8
	s_movk_i32 s0, 0x7a
	v_sub_u32_e32 v25, 0x79, v5
	v_cmp_gt_u32_e32 vcc, s0, v5
	v_add_u32_e32 v21, 0xffffff81, v5
	v_cndmask_b32_e32 v25, 0, v25, vcc
	v_mov_b32_e32 v27, 0xffffff82
	v_cmp_eq_u32_e32 vcc, 0, v5
	v_cndmask_b32_e32 v5, v21, v27, vcc
	v_mov_b32_e32 v21, 0x78
	v_cndmask_b32_e32 v21, v25, v21, vcc
	v_or_b32_e32 v26, 0x800000, v0
	v_add_u32_e32 v25, 20, v21
	v_cndmask_b32_e32 v0, v26, v0, vcc
	v_lshlrev_b64 v[26:27], v25, -1
	v_not_b32_e32 v25, v27
	v_not_b32_e32 v26, v26
	v_and_b32_e32 v27, 0, v25
	v_and_b32_e32 v26, v0, v26
	v_add_u32_e32 v25, 19, v21
	v_lshrrev_b64 v[0:1], v21, v[0:1]
	v_lshlrev_b64 v[28:29], v25, 1
	v_lshrrev_b32_e32 v25, 23, v0
	v_add3_u32 v25, v21, v5, v25
	v_bfe_u32 v21, v0, 20, 1
	v_add_u32_e32 v21, -1, v21
	v_cmp_eq_u64_e32 vcc, v[26:27], v[28:29]
	v_cndmask_b32_e32 v21, 0, v21, vcc
	v_add_u32_e32 v21, v21, v0
	v_and_b32_e32 v21, 0xfffff, v21
	v_add_co_u32_e32 v0, vcc, v21, v0
	v_add_u32_e32 v5, 6, v25
	v_addc_co_u32_e32 v1, vcc, 0, v1, vcc
	v_cmp_ne_u32_e32 vcc, 0, v5
                                        ; implicit-def: $vgpr21
	s_and_saveexec_b64 s[0:1], vcc
	s_xor_b64 s[0:1], exec, s[0:1]
; %bb.102:
	s_mov_b64 s[14:15], 0xffffff
	v_add_u32_e32 v21, 7, v25
	v_cmp_lt_u64_e32 vcc, s[14:15], v[0:1]
	v_cndmask_b32_e32 v21, v5, v21, vcc
	v_cndmask_b32_e64 v5, 0, 1, vcc
	v_lshrrev_b64 v[0:1], v5, v[0:1]
; %bb.103:
	s_andn2_saveexec_b64 s[0:1], s[0:1]
; %bb.104:
	v_bfe_u32 v21, v0, 23, 1
; %bb.105:
	s_or_b64 exec, exec, s[0:1]
	v_lshrrev_b64 v[0:1], 20, v[0:1]
	v_cmp_gt_i32_e32 vcc, 16, v21
	v_cndmask_b32_e32 v1, 0, v1, vcc
	v_cndmask_b32_e32 v0, 7, v0, vcc
	v_cmp_ne_u32_e32 vcc, 0, v21
	v_cmp_ne_u64_e64 s[0:1], 0, v[0:1]
	s_or_b64 s[0:1], vcc, s[0:1]
                                        ; implicit-def: $vgpr5
	s_and_saveexec_b64 s[14:15], s[0:1]
	s_xor_b64 s[0:1], exec, s[14:15]
; %bb.106:
	v_min_i32_e32 v1, 15, v21
	v_lshl_or_b32 v1, v1, 3, v20
	v_and_or_b32 v5, v0, 7, v1
                                        ; implicit-def: $vgpr20
; %bb.107:
	s_andn2_saveexec_b64 s[0:1], s[0:1]
; %bb.108:
	v_mov_b32_e32 v5, v20
; %bb.109:
	s_or_b64 exec, exec, s[0:1]
.LBB13_110:
	s_or_b64 exec, exec, s[12:13]
.LBB13_111:
	s_andn2_saveexec_b64 s[0:1], s[10:11]
	s_or_b64 exec, exec, s[0:1]
                                        ; implicit-def: $vgpr21
                                        ; implicit-def: $vgpr0_vgpr1
.LBB13_112:
	s_andn2_saveexec_b64 s[0:1], s[8:9]
; %bb.113:
	s_movk_i32 s8, 0x7f
	v_or_b32_sdwa v20, v21, s8 dst_sel:DWORD dst_unused:UNUSED_PAD src0_sel:BYTE_3 src1_sel:DWORD
	v_cmp_eq_u64_e32 vcc, 0, v[0:1]
	v_cndmask_b32_e32 v5, v20, v5, vcc
; %bb.114:
	s_or_b64 exec, exec, s[0:1]
	v_mul_f32_e32 v0, v6, v23
	v_max_f32_e32 v0, 0xc3e00000, v0
	v_min_f32_e32 v21, 0x43e00000, v0
	v_mov_b32_e32 v1, 0
	s_movk_i32 s0, 0x80
	v_and_b32_sdwa v20, v21, s0 dst_sel:DWORD dst_unused:UNUSED_PAD src0_sel:BYTE_3 src1_sel:DWORD
	v_and_b32_e32 v26, 0x7f800000, v21
	v_mov_b32_e32 v27, v1
	s_mov_b64 s[0:1], 0x7f800000
	v_and_b32_e32 v0, 0x7fffff, v21
	v_or_b32_e32 v6, 0x7e, v20
	v_cmp_ne_u64_e32 vcc, s[0:1], v[26:27]
	s_and_saveexec_b64 s[0:1], vcc
	s_xor_b64 s[8:9], exec, s[0:1]
	s_cbranch_execz .LBB13_128
; %bb.115:
	v_and_b32_e32 v26, 0x7fffffff, v21
	v_mov_b32_e32 v27, v1
	s_mov_b64 s[0:1], 0x43e00001
	v_cmp_gt_u64_e32 vcc, s[0:1], v[26:27]
	s_and_saveexec_b64 s[0:1], vcc
	s_xor_b64 s[10:11], exec, s[0:1]
	s_cbranch_execz .LBB13_127
; %bb.116:
	v_cmp_ne_u32_e32 vcc, 0, v21
	v_mov_b32_e32 v6, 0
	s_and_saveexec_b64 s[12:13], vcc
	s_cbranch_execz .LBB13_126
; %bb.117:
	v_bfe_u32 v6, v21, 23, 8
	s_movk_i32 s0, 0x7a
	v_sub_u32_e32 v25, 0x79, v6
	v_cmp_gt_u32_e32 vcc, s0, v6
	v_add_u32_e32 v21, 0xffffff81, v6
	v_cndmask_b32_e32 v25, 0, v25, vcc
	v_mov_b32_e32 v27, 0xffffff82
	v_cmp_eq_u32_e32 vcc, 0, v6
	v_cndmask_b32_e32 v6, v21, v27, vcc
	v_mov_b32_e32 v21, 0x78
	v_cndmask_b32_e32 v21, v25, v21, vcc
	v_or_b32_e32 v26, 0x800000, v0
	v_add_u32_e32 v25, 20, v21
	v_cndmask_b32_e32 v0, v26, v0, vcc
	v_lshlrev_b64 v[26:27], v25, -1
	v_not_b32_e32 v25, v27
	v_not_b32_e32 v26, v26
	v_and_b32_e32 v27, 0, v25
	v_and_b32_e32 v26, v0, v26
	v_add_u32_e32 v25, 19, v21
	v_lshrrev_b64 v[0:1], v21, v[0:1]
	v_lshlrev_b64 v[28:29], v25, 1
	v_lshrrev_b32_e32 v25, 23, v0
	v_add3_u32 v25, v21, v6, v25
	v_bfe_u32 v21, v0, 20, 1
	v_add_u32_e32 v21, -1, v21
	v_cmp_eq_u64_e32 vcc, v[26:27], v[28:29]
	v_cndmask_b32_e32 v21, 0, v21, vcc
	v_add_u32_e32 v21, v21, v0
	v_and_b32_e32 v21, 0xfffff, v21
	v_add_co_u32_e32 v0, vcc, v21, v0
	v_add_u32_e32 v6, 6, v25
	v_addc_co_u32_e32 v1, vcc, 0, v1, vcc
	v_cmp_ne_u32_e32 vcc, 0, v6
                                        ; implicit-def: $vgpr21
	s_and_saveexec_b64 s[0:1], vcc
	s_xor_b64 s[0:1], exec, s[0:1]
; %bb.118:
	s_mov_b64 s[14:15], 0xffffff
	v_add_u32_e32 v21, 7, v25
	v_cmp_lt_u64_e32 vcc, s[14:15], v[0:1]
	v_cndmask_b32_e32 v21, v6, v21, vcc
	v_cndmask_b32_e64 v6, 0, 1, vcc
	v_lshrrev_b64 v[0:1], v6, v[0:1]
; %bb.119:
	s_andn2_saveexec_b64 s[0:1], s[0:1]
; %bb.120:
	v_bfe_u32 v21, v0, 23, 1
; %bb.121:
	s_or_b64 exec, exec, s[0:1]
	v_lshrrev_b64 v[0:1], 20, v[0:1]
	v_cmp_gt_i32_e32 vcc, 16, v21
	v_cndmask_b32_e32 v1, 0, v1, vcc
	v_cndmask_b32_e32 v0, 7, v0, vcc
	v_cmp_ne_u32_e32 vcc, 0, v21
	v_cmp_ne_u64_e64 s[0:1], 0, v[0:1]
	s_or_b64 s[0:1], vcc, s[0:1]
                                        ; implicit-def: $vgpr6
	s_and_saveexec_b64 s[14:15], s[0:1]
	s_xor_b64 s[0:1], exec, s[14:15]
; %bb.122:
	v_min_i32_e32 v1, 15, v21
	v_lshl_or_b32 v1, v1, 3, v20
	v_and_or_b32 v6, v0, 7, v1
                                        ; implicit-def: $vgpr20
; %bb.123:
	s_andn2_saveexec_b64 s[0:1], s[0:1]
; %bb.124:
	v_mov_b32_e32 v6, v20
; %bb.125:
	s_or_b64 exec, exec, s[0:1]
.LBB13_126:
	s_or_b64 exec, exec, s[12:13]
.LBB13_127:
	s_andn2_saveexec_b64 s[0:1], s[10:11]
	s_or_b64 exec, exec, s[0:1]
                                        ; implicit-def: $vgpr21
                                        ; implicit-def: $vgpr0_vgpr1
.LBB13_128:
	s_andn2_saveexec_b64 s[0:1], s[8:9]
; %bb.129:
	s_movk_i32 s8, 0x7f
	v_or_b32_sdwa v20, v21, s8 dst_sel:DWORD dst_unused:UNUSED_PAD src0_sel:BYTE_3 src1_sel:DWORD
	v_cmp_eq_u64_e32 vcc, 0, v[0:1]
	v_cndmask_b32_e32 v6, v20, v6, vcc
; %bb.130:
	s_or_b64 exec, exec, s[0:1]
	v_mul_f32_e32 v0, v7, v23
	v_max_f32_e32 v0, 0xc3e00000, v0
	v_min_f32_e32 v21, 0x43e00000, v0
	v_mov_b32_e32 v1, 0
	s_movk_i32 s0, 0x80
	v_and_b32_sdwa v20, v21, s0 dst_sel:DWORD dst_unused:UNUSED_PAD src0_sel:BYTE_3 src1_sel:DWORD
	v_and_b32_e32 v26, 0x7f800000, v21
	v_mov_b32_e32 v27, v1
	s_mov_b64 s[0:1], 0x7f800000
	v_and_b32_e32 v0, 0x7fffff, v21
	v_or_b32_e32 v7, 0x7e, v20
	v_cmp_ne_u64_e32 vcc, s[0:1], v[26:27]
	s_and_saveexec_b64 s[0:1], vcc
	s_xor_b64 s[8:9], exec, s[0:1]
	s_cbranch_execz .LBB13_144
; %bb.131:
	v_and_b32_e32 v26, 0x7fffffff, v21
	v_mov_b32_e32 v27, v1
	s_mov_b64 s[0:1], 0x43e00001
	v_cmp_gt_u64_e32 vcc, s[0:1], v[26:27]
	s_and_saveexec_b64 s[0:1], vcc
	s_xor_b64 s[10:11], exec, s[0:1]
	s_cbranch_execz .LBB13_143
; %bb.132:
	v_cmp_ne_u32_e32 vcc, 0, v21
	v_mov_b32_e32 v7, 0
	s_and_saveexec_b64 s[12:13], vcc
	s_cbranch_execz .LBB13_142
; %bb.133:
	v_bfe_u32 v7, v21, 23, 8
	s_movk_i32 s0, 0x7a
	v_sub_u32_e32 v25, 0x79, v7
	v_cmp_gt_u32_e32 vcc, s0, v7
	v_add_u32_e32 v21, 0xffffff81, v7
	v_cndmask_b32_e32 v25, 0, v25, vcc
	v_mov_b32_e32 v27, 0xffffff82
	v_cmp_eq_u32_e32 vcc, 0, v7
	v_cndmask_b32_e32 v7, v21, v27, vcc
	v_mov_b32_e32 v21, 0x78
	v_cndmask_b32_e32 v21, v25, v21, vcc
	v_or_b32_e32 v26, 0x800000, v0
	v_add_u32_e32 v25, 20, v21
	v_cndmask_b32_e32 v0, v26, v0, vcc
	v_lshlrev_b64 v[26:27], v25, -1
	v_not_b32_e32 v25, v27
	v_not_b32_e32 v26, v26
	v_and_b32_e32 v27, 0, v25
	v_and_b32_e32 v26, v0, v26
	v_add_u32_e32 v25, 19, v21
	v_lshrrev_b64 v[0:1], v21, v[0:1]
	v_lshlrev_b64 v[28:29], v25, 1
	v_lshrrev_b32_e32 v25, 23, v0
	v_add3_u32 v25, v21, v7, v25
	v_bfe_u32 v21, v0, 20, 1
	v_add_u32_e32 v21, -1, v21
	v_cmp_eq_u64_e32 vcc, v[26:27], v[28:29]
	v_cndmask_b32_e32 v21, 0, v21, vcc
	v_add_u32_e32 v21, v21, v0
	v_and_b32_e32 v21, 0xfffff, v21
	v_add_co_u32_e32 v0, vcc, v21, v0
	v_add_u32_e32 v7, 6, v25
	v_addc_co_u32_e32 v1, vcc, 0, v1, vcc
	v_cmp_ne_u32_e32 vcc, 0, v7
                                        ; implicit-def: $vgpr21
	s_and_saveexec_b64 s[0:1], vcc
	s_xor_b64 s[0:1], exec, s[0:1]
; %bb.134:
	s_mov_b64 s[14:15], 0xffffff
	v_add_u32_e32 v21, 7, v25
	v_cmp_lt_u64_e32 vcc, s[14:15], v[0:1]
	v_cndmask_b32_e32 v21, v7, v21, vcc
	v_cndmask_b32_e64 v7, 0, 1, vcc
	v_lshrrev_b64 v[0:1], v7, v[0:1]
; %bb.135:
	s_andn2_saveexec_b64 s[0:1], s[0:1]
; %bb.136:
	v_bfe_u32 v21, v0, 23, 1
; %bb.137:
	s_or_b64 exec, exec, s[0:1]
	v_lshrrev_b64 v[0:1], 20, v[0:1]
	v_cmp_gt_i32_e32 vcc, 16, v21
	v_cndmask_b32_e32 v1, 0, v1, vcc
	v_cndmask_b32_e32 v0, 7, v0, vcc
	v_cmp_ne_u32_e32 vcc, 0, v21
	v_cmp_ne_u64_e64 s[0:1], 0, v[0:1]
	s_or_b64 s[0:1], vcc, s[0:1]
                                        ; implicit-def: $vgpr7
	s_and_saveexec_b64 s[14:15], s[0:1]
	s_xor_b64 s[0:1], exec, s[14:15]
; %bb.138:
	v_min_i32_e32 v1, 15, v21
	v_lshl_or_b32 v1, v1, 3, v20
	v_and_or_b32 v7, v0, 7, v1
                                        ; implicit-def: $vgpr20
; %bb.139:
	s_andn2_saveexec_b64 s[0:1], s[0:1]
; %bb.140:
	v_mov_b32_e32 v7, v20
; %bb.141:
	s_or_b64 exec, exec, s[0:1]
.LBB13_142:
	s_or_b64 exec, exec, s[12:13]
.LBB13_143:
	s_andn2_saveexec_b64 s[0:1], s[10:11]
	s_or_b64 exec, exec, s[0:1]
                                        ; implicit-def: $vgpr21
                                        ; implicit-def: $vgpr0_vgpr1
.LBB13_144:
	s_andn2_saveexec_b64 s[0:1], s[8:9]
; %bb.145:
	s_movk_i32 s8, 0x7f
	v_or_b32_sdwa v20, v21, s8 dst_sel:DWORD dst_unused:UNUSED_PAD src0_sel:BYTE_3 src1_sel:DWORD
	v_cmp_eq_u64_e32 vcc, 0, v[0:1]
	v_cndmask_b32_e32 v7, v20, v7, vcc
; %bb.146:
	s_or_b64 exec, exec, s[0:1]
	v_mul_f32_e32 v0, v8, v23
	v_max_f32_e32 v0, 0xc3e00000, v0
	v_min_f32_e32 v21, 0x43e00000, v0
	v_mov_b32_e32 v1, 0
	s_movk_i32 s0, 0x80
	v_and_b32_sdwa v20, v21, s0 dst_sel:DWORD dst_unused:UNUSED_PAD src0_sel:BYTE_3 src1_sel:DWORD
	v_and_b32_e32 v26, 0x7f800000, v21
	v_mov_b32_e32 v27, v1
	s_mov_b64 s[0:1], 0x7f800000
	v_and_b32_e32 v0, 0x7fffff, v21
	v_or_b32_e32 v8, 0x7e, v20
	v_cmp_ne_u64_e32 vcc, s[0:1], v[26:27]
	s_and_saveexec_b64 s[0:1], vcc
	s_xor_b64 s[8:9], exec, s[0:1]
	s_cbranch_execz .LBB13_160
; %bb.147:
	v_and_b32_e32 v26, 0x7fffffff, v21
	v_mov_b32_e32 v27, v1
	s_mov_b64 s[0:1], 0x43e00001
	v_cmp_gt_u64_e32 vcc, s[0:1], v[26:27]
	s_and_saveexec_b64 s[0:1], vcc
	s_xor_b64 s[10:11], exec, s[0:1]
	s_cbranch_execz .LBB13_159
; %bb.148:
	v_cmp_ne_u32_e32 vcc, 0, v21
	v_mov_b32_e32 v8, 0
	s_and_saveexec_b64 s[12:13], vcc
	s_cbranch_execz .LBB13_158
; %bb.149:
	v_bfe_u32 v8, v21, 23, 8
	s_movk_i32 s0, 0x7a
	v_sub_u32_e32 v25, 0x79, v8
	v_cmp_gt_u32_e32 vcc, s0, v8
	v_add_u32_e32 v21, 0xffffff81, v8
	v_cndmask_b32_e32 v25, 0, v25, vcc
	v_mov_b32_e32 v27, 0xffffff82
	v_cmp_eq_u32_e32 vcc, 0, v8
	v_cndmask_b32_e32 v8, v21, v27, vcc
	v_mov_b32_e32 v21, 0x78
	v_cndmask_b32_e32 v21, v25, v21, vcc
	v_or_b32_e32 v26, 0x800000, v0
	v_add_u32_e32 v25, 20, v21
	v_cndmask_b32_e32 v0, v26, v0, vcc
	v_lshlrev_b64 v[26:27], v25, -1
	v_not_b32_e32 v25, v27
	v_not_b32_e32 v26, v26
	v_and_b32_e32 v27, 0, v25
	v_and_b32_e32 v26, v0, v26
	v_add_u32_e32 v25, 19, v21
	v_lshrrev_b64 v[0:1], v21, v[0:1]
	v_lshlrev_b64 v[28:29], v25, 1
	v_lshrrev_b32_e32 v25, 23, v0
	v_add3_u32 v25, v21, v8, v25
	v_bfe_u32 v21, v0, 20, 1
	v_add_u32_e32 v21, -1, v21
	v_cmp_eq_u64_e32 vcc, v[26:27], v[28:29]
	v_cndmask_b32_e32 v21, 0, v21, vcc
	v_add_u32_e32 v21, v21, v0
	v_and_b32_e32 v21, 0xfffff, v21
	v_add_co_u32_e32 v0, vcc, v21, v0
	v_add_u32_e32 v8, 6, v25
	v_addc_co_u32_e32 v1, vcc, 0, v1, vcc
	v_cmp_ne_u32_e32 vcc, 0, v8
                                        ; implicit-def: $vgpr21
	s_and_saveexec_b64 s[0:1], vcc
	s_xor_b64 s[0:1], exec, s[0:1]
; %bb.150:
	s_mov_b64 s[14:15], 0xffffff
	v_add_u32_e32 v21, 7, v25
	v_cmp_lt_u64_e32 vcc, s[14:15], v[0:1]
	v_cndmask_b32_e32 v21, v8, v21, vcc
	v_cndmask_b32_e64 v8, 0, 1, vcc
	v_lshrrev_b64 v[0:1], v8, v[0:1]
; %bb.151:
	s_andn2_saveexec_b64 s[0:1], s[0:1]
; %bb.152:
	v_bfe_u32 v21, v0, 23, 1
; %bb.153:
	s_or_b64 exec, exec, s[0:1]
	v_lshrrev_b64 v[0:1], 20, v[0:1]
	v_cmp_gt_i32_e32 vcc, 16, v21
	v_cndmask_b32_e32 v1, 0, v1, vcc
	v_cndmask_b32_e32 v0, 7, v0, vcc
	v_cmp_ne_u32_e32 vcc, 0, v21
	v_cmp_ne_u64_e64 s[0:1], 0, v[0:1]
	s_or_b64 s[0:1], vcc, s[0:1]
                                        ; implicit-def: $vgpr8
	s_and_saveexec_b64 s[14:15], s[0:1]
	s_xor_b64 s[0:1], exec, s[14:15]
; %bb.154:
	v_min_i32_e32 v1, 15, v21
	v_lshl_or_b32 v1, v1, 3, v20
	v_and_or_b32 v8, v0, 7, v1
                                        ; implicit-def: $vgpr20
; %bb.155:
	s_andn2_saveexec_b64 s[0:1], s[0:1]
; %bb.156:
	v_mov_b32_e32 v8, v20
; %bb.157:
	s_or_b64 exec, exec, s[0:1]
.LBB13_158:
	s_or_b64 exec, exec, s[12:13]
.LBB13_159:
	s_andn2_saveexec_b64 s[0:1], s[10:11]
	s_or_b64 exec, exec, s[0:1]
                                        ; implicit-def: $vgpr21
                                        ; implicit-def: $vgpr0_vgpr1
.LBB13_160:
	s_andn2_saveexec_b64 s[0:1], s[8:9]
; %bb.161:
	s_movk_i32 s8, 0x7f
	v_or_b32_sdwa v20, v21, s8 dst_sel:DWORD dst_unused:UNUSED_PAD src0_sel:BYTE_3 src1_sel:DWORD
	v_cmp_eq_u64_e32 vcc, 0, v[0:1]
	v_cndmask_b32_e32 v8, v20, v8, vcc
; %bb.162:
	s_or_b64 exec, exec, s[0:1]
	v_mul_f32_e32 v0, v9, v23
	v_max_f32_e32 v0, 0xc3e00000, v0
	v_min_f32_e32 v21, 0x43e00000, v0
	v_mov_b32_e32 v1, 0
	s_movk_i32 s0, 0x80
	v_and_b32_sdwa v20, v21, s0 dst_sel:DWORD dst_unused:UNUSED_PAD src0_sel:BYTE_3 src1_sel:DWORD
	v_and_b32_e32 v26, 0x7f800000, v21
	v_mov_b32_e32 v27, v1
	s_mov_b64 s[0:1], 0x7f800000
	v_and_b32_e32 v0, 0x7fffff, v21
	v_or_b32_e32 v9, 0x7e, v20
	v_cmp_ne_u64_e32 vcc, s[0:1], v[26:27]
	s_and_saveexec_b64 s[0:1], vcc
	s_xor_b64 s[8:9], exec, s[0:1]
	s_cbranch_execz .LBB13_176
; %bb.163:
	v_and_b32_e32 v26, 0x7fffffff, v21
	v_mov_b32_e32 v27, v1
	s_mov_b64 s[0:1], 0x43e00001
	v_cmp_gt_u64_e32 vcc, s[0:1], v[26:27]
	s_and_saveexec_b64 s[0:1], vcc
	s_xor_b64 s[10:11], exec, s[0:1]
	s_cbranch_execz .LBB13_175
; %bb.164:
	v_cmp_ne_u32_e32 vcc, 0, v21
	v_mov_b32_e32 v9, 0
	s_and_saveexec_b64 s[12:13], vcc
	s_cbranch_execz .LBB13_174
; %bb.165:
	v_bfe_u32 v9, v21, 23, 8
	s_movk_i32 s0, 0x7a
	v_sub_u32_e32 v25, 0x79, v9
	v_cmp_gt_u32_e32 vcc, s0, v9
	v_add_u32_e32 v21, 0xffffff81, v9
	v_cndmask_b32_e32 v25, 0, v25, vcc
	v_mov_b32_e32 v27, 0xffffff82
	v_cmp_eq_u32_e32 vcc, 0, v9
	v_cndmask_b32_e32 v9, v21, v27, vcc
	v_mov_b32_e32 v21, 0x78
	v_cndmask_b32_e32 v21, v25, v21, vcc
	v_or_b32_e32 v26, 0x800000, v0
	v_add_u32_e32 v25, 20, v21
	v_cndmask_b32_e32 v0, v26, v0, vcc
	v_lshlrev_b64 v[26:27], v25, -1
	v_not_b32_e32 v25, v27
	v_not_b32_e32 v26, v26
	v_and_b32_e32 v27, 0, v25
	v_and_b32_e32 v26, v0, v26
	v_add_u32_e32 v25, 19, v21
	v_lshrrev_b64 v[0:1], v21, v[0:1]
	v_lshlrev_b64 v[28:29], v25, 1
	v_lshrrev_b32_e32 v25, 23, v0
	v_add3_u32 v25, v21, v9, v25
	v_bfe_u32 v21, v0, 20, 1
	v_add_u32_e32 v21, -1, v21
	v_cmp_eq_u64_e32 vcc, v[26:27], v[28:29]
	v_cndmask_b32_e32 v21, 0, v21, vcc
	v_add_u32_e32 v21, v21, v0
	v_and_b32_e32 v21, 0xfffff, v21
	v_add_co_u32_e32 v0, vcc, v21, v0
	v_add_u32_e32 v9, 6, v25
	v_addc_co_u32_e32 v1, vcc, 0, v1, vcc
	v_cmp_ne_u32_e32 vcc, 0, v9
                                        ; implicit-def: $vgpr21
	s_and_saveexec_b64 s[0:1], vcc
	s_xor_b64 s[0:1], exec, s[0:1]
; %bb.166:
	s_mov_b64 s[14:15], 0xffffff
	v_add_u32_e32 v21, 7, v25
	v_cmp_lt_u64_e32 vcc, s[14:15], v[0:1]
	v_cndmask_b32_e32 v21, v9, v21, vcc
	v_cndmask_b32_e64 v9, 0, 1, vcc
	v_lshrrev_b64 v[0:1], v9, v[0:1]
; %bb.167:
	s_andn2_saveexec_b64 s[0:1], s[0:1]
; %bb.168:
	v_bfe_u32 v21, v0, 23, 1
; %bb.169:
	s_or_b64 exec, exec, s[0:1]
	v_lshrrev_b64 v[0:1], 20, v[0:1]
	v_cmp_gt_i32_e32 vcc, 16, v21
	v_cndmask_b32_e32 v1, 0, v1, vcc
	v_cndmask_b32_e32 v0, 7, v0, vcc
	v_cmp_ne_u32_e32 vcc, 0, v21
	v_cmp_ne_u64_e64 s[0:1], 0, v[0:1]
	s_or_b64 s[0:1], vcc, s[0:1]
                                        ; implicit-def: $vgpr9
	s_and_saveexec_b64 s[14:15], s[0:1]
	s_xor_b64 s[0:1], exec, s[14:15]
; %bb.170:
	v_min_i32_e32 v1, 15, v21
	v_lshl_or_b32 v1, v1, 3, v20
	v_and_or_b32 v9, v0, 7, v1
                                        ; implicit-def: $vgpr20
; %bb.171:
	s_andn2_saveexec_b64 s[0:1], s[0:1]
; %bb.172:
	v_mov_b32_e32 v9, v20
; %bb.173:
	s_or_b64 exec, exec, s[0:1]
.LBB13_174:
	s_or_b64 exec, exec, s[12:13]
.LBB13_175:
	s_andn2_saveexec_b64 s[0:1], s[10:11]
	s_or_b64 exec, exec, s[0:1]
                                        ; implicit-def: $vgpr21
                                        ; implicit-def: $vgpr0_vgpr1
.LBB13_176:
	s_andn2_saveexec_b64 s[0:1], s[8:9]
; %bb.177:
	s_movk_i32 s8, 0x7f
	v_or_b32_sdwa v20, v21, s8 dst_sel:DWORD dst_unused:UNUSED_PAD src0_sel:BYTE_3 src1_sel:DWORD
	v_cmp_eq_u64_e32 vcc, 0, v[0:1]
	v_cndmask_b32_e32 v9, v20, v9, vcc
; %bb.178:
	s_or_b64 exec, exec, s[0:1]
	v_mul_f32_e32 v0, v10, v23
	v_max_f32_e32 v0, 0xc3e00000, v0
	v_min_f32_e32 v21, 0x43e00000, v0
	v_mov_b32_e32 v1, 0
	s_movk_i32 s0, 0x80
	v_and_b32_sdwa v20, v21, s0 dst_sel:DWORD dst_unused:UNUSED_PAD src0_sel:BYTE_3 src1_sel:DWORD
	v_and_b32_e32 v26, 0x7f800000, v21
	v_mov_b32_e32 v27, v1
	s_mov_b64 s[0:1], 0x7f800000
	v_and_b32_e32 v0, 0x7fffff, v21
	v_or_b32_e32 v10, 0x7e, v20
	v_cmp_ne_u64_e32 vcc, s[0:1], v[26:27]
	s_and_saveexec_b64 s[0:1], vcc
	s_xor_b64 s[8:9], exec, s[0:1]
	s_cbranch_execz .LBB13_192
; %bb.179:
	v_and_b32_e32 v26, 0x7fffffff, v21
	v_mov_b32_e32 v27, v1
	s_mov_b64 s[0:1], 0x43e00001
	v_cmp_gt_u64_e32 vcc, s[0:1], v[26:27]
	s_and_saveexec_b64 s[0:1], vcc
	s_xor_b64 s[10:11], exec, s[0:1]
	s_cbranch_execz .LBB13_191
; %bb.180:
	v_cmp_ne_u32_e32 vcc, 0, v21
	v_mov_b32_e32 v10, 0
	s_and_saveexec_b64 s[12:13], vcc
	s_cbranch_execz .LBB13_190
; %bb.181:
	v_bfe_u32 v10, v21, 23, 8
	s_movk_i32 s0, 0x7a
	v_sub_u32_e32 v25, 0x79, v10
	v_cmp_gt_u32_e32 vcc, s0, v10
	v_add_u32_e32 v21, 0xffffff81, v10
	v_cndmask_b32_e32 v25, 0, v25, vcc
	v_mov_b32_e32 v27, 0xffffff82
	v_cmp_eq_u32_e32 vcc, 0, v10
	v_cndmask_b32_e32 v10, v21, v27, vcc
	v_mov_b32_e32 v21, 0x78
	v_cndmask_b32_e32 v21, v25, v21, vcc
	v_or_b32_e32 v26, 0x800000, v0
	v_add_u32_e32 v25, 20, v21
	v_cndmask_b32_e32 v0, v26, v0, vcc
	v_lshlrev_b64 v[26:27], v25, -1
	v_not_b32_e32 v25, v27
	v_not_b32_e32 v26, v26
	v_and_b32_e32 v27, 0, v25
	v_and_b32_e32 v26, v0, v26
	v_add_u32_e32 v25, 19, v21
	v_lshrrev_b64 v[0:1], v21, v[0:1]
	v_lshlrev_b64 v[28:29], v25, 1
	v_lshrrev_b32_e32 v25, 23, v0
	v_add3_u32 v25, v21, v10, v25
	v_bfe_u32 v21, v0, 20, 1
	v_add_u32_e32 v21, -1, v21
	v_cmp_eq_u64_e32 vcc, v[26:27], v[28:29]
	v_cndmask_b32_e32 v21, 0, v21, vcc
	v_add_u32_e32 v21, v21, v0
	v_and_b32_e32 v21, 0xfffff, v21
	v_add_co_u32_e32 v0, vcc, v21, v0
	v_add_u32_e32 v10, 6, v25
	v_addc_co_u32_e32 v1, vcc, 0, v1, vcc
	v_cmp_ne_u32_e32 vcc, 0, v10
                                        ; implicit-def: $vgpr21
	s_and_saveexec_b64 s[0:1], vcc
	s_xor_b64 s[0:1], exec, s[0:1]
; %bb.182:
	s_mov_b64 s[14:15], 0xffffff
	v_add_u32_e32 v21, 7, v25
	v_cmp_lt_u64_e32 vcc, s[14:15], v[0:1]
	v_cndmask_b32_e32 v21, v10, v21, vcc
	v_cndmask_b32_e64 v10, 0, 1, vcc
	v_lshrrev_b64 v[0:1], v10, v[0:1]
; %bb.183:
	s_andn2_saveexec_b64 s[0:1], s[0:1]
; %bb.184:
	v_bfe_u32 v21, v0, 23, 1
; %bb.185:
	s_or_b64 exec, exec, s[0:1]
	v_lshrrev_b64 v[0:1], 20, v[0:1]
	v_cmp_gt_i32_e32 vcc, 16, v21
	v_cndmask_b32_e32 v1, 0, v1, vcc
	v_cndmask_b32_e32 v0, 7, v0, vcc
	v_cmp_ne_u32_e32 vcc, 0, v21
	v_cmp_ne_u64_e64 s[0:1], 0, v[0:1]
	s_or_b64 s[0:1], vcc, s[0:1]
                                        ; implicit-def: $vgpr10
	s_and_saveexec_b64 s[14:15], s[0:1]
	s_xor_b64 s[0:1], exec, s[14:15]
; %bb.186:
	v_min_i32_e32 v1, 15, v21
	v_lshl_or_b32 v1, v1, 3, v20
	v_and_or_b32 v10, v0, 7, v1
                                        ; implicit-def: $vgpr20
; %bb.187:
	s_andn2_saveexec_b64 s[0:1], s[0:1]
; %bb.188:
	v_mov_b32_e32 v10, v20
; %bb.189:
	s_or_b64 exec, exec, s[0:1]
.LBB13_190:
	s_or_b64 exec, exec, s[12:13]
.LBB13_191:
	s_andn2_saveexec_b64 s[0:1], s[10:11]
	s_or_b64 exec, exec, s[0:1]
                                        ; implicit-def: $vgpr21
                                        ; implicit-def: $vgpr0_vgpr1
.LBB13_192:
	s_andn2_saveexec_b64 s[0:1], s[8:9]
; %bb.193:
	s_movk_i32 s8, 0x7f
	v_or_b32_sdwa v20, v21, s8 dst_sel:DWORD dst_unused:UNUSED_PAD src0_sel:BYTE_3 src1_sel:DWORD
	v_cmp_eq_u64_e32 vcc, 0, v[0:1]
	v_cndmask_b32_e32 v10, v20, v10, vcc
; %bb.194:
	s_or_b64 exec, exec, s[0:1]
	v_mul_f32_e32 v0, v11, v23
	v_max_f32_e32 v0, 0xc3e00000, v0
	v_min_f32_e32 v21, 0x43e00000, v0
	v_mov_b32_e32 v1, 0
	s_movk_i32 s0, 0x80
	v_and_b32_sdwa v20, v21, s0 dst_sel:DWORD dst_unused:UNUSED_PAD src0_sel:BYTE_3 src1_sel:DWORD
	v_and_b32_e32 v26, 0x7f800000, v21
	v_mov_b32_e32 v27, v1
	s_mov_b64 s[0:1], 0x7f800000
	v_and_b32_e32 v0, 0x7fffff, v21
	v_or_b32_e32 v11, 0x7e, v20
	v_cmp_ne_u64_e32 vcc, s[0:1], v[26:27]
	s_and_saveexec_b64 s[0:1], vcc
	s_xor_b64 s[8:9], exec, s[0:1]
	s_cbranch_execz .LBB13_208
; %bb.195:
	v_and_b32_e32 v26, 0x7fffffff, v21
	v_mov_b32_e32 v27, v1
	s_mov_b64 s[0:1], 0x43e00001
	v_cmp_gt_u64_e32 vcc, s[0:1], v[26:27]
	s_and_saveexec_b64 s[0:1], vcc
	s_xor_b64 s[10:11], exec, s[0:1]
	s_cbranch_execz .LBB13_207
; %bb.196:
	v_cmp_ne_u32_e32 vcc, 0, v21
	v_mov_b32_e32 v11, 0
	s_and_saveexec_b64 s[12:13], vcc
	s_cbranch_execz .LBB13_206
; %bb.197:
	v_bfe_u32 v11, v21, 23, 8
	s_movk_i32 s0, 0x7a
	v_sub_u32_e32 v25, 0x79, v11
	v_cmp_gt_u32_e32 vcc, s0, v11
	v_add_u32_e32 v21, 0xffffff81, v11
	v_cndmask_b32_e32 v25, 0, v25, vcc
	v_mov_b32_e32 v27, 0xffffff82
	v_cmp_eq_u32_e32 vcc, 0, v11
	v_cndmask_b32_e32 v11, v21, v27, vcc
	v_mov_b32_e32 v21, 0x78
	v_cndmask_b32_e32 v21, v25, v21, vcc
	v_or_b32_e32 v26, 0x800000, v0
	v_add_u32_e32 v25, 20, v21
	v_cndmask_b32_e32 v0, v26, v0, vcc
	v_lshlrev_b64 v[26:27], v25, -1
	v_not_b32_e32 v25, v27
	v_not_b32_e32 v26, v26
	v_and_b32_e32 v27, 0, v25
	v_and_b32_e32 v26, v0, v26
	v_add_u32_e32 v25, 19, v21
	v_lshrrev_b64 v[0:1], v21, v[0:1]
	v_lshlrev_b64 v[28:29], v25, 1
	v_lshrrev_b32_e32 v25, 23, v0
	v_add3_u32 v25, v21, v11, v25
	v_bfe_u32 v21, v0, 20, 1
	v_add_u32_e32 v21, -1, v21
	v_cmp_eq_u64_e32 vcc, v[26:27], v[28:29]
	v_cndmask_b32_e32 v21, 0, v21, vcc
	v_add_u32_e32 v21, v21, v0
	v_and_b32_e32 v21, 0xfffff, v21
	v_add_co_u32_e32 v0, vcc, v21, v0
	v_add_u32_e32 v11, 6, v25
	v_addc_co_u32_e32 v1, vcc, 0, v1, vcc
	v_cmp_ne_u32_e32 vcc, 0, v11
                                        ; implicit-def: $vgpr21
	s_and_saveexec_b64 s[0:1], vcc
	s_xor_b64 s[0:1], exec, s[0:1]
; %bb.198:
	s_mov_b64 s[14:15], 0xffffff
	v_add_u32_e32 v21, 7, v25
	v_cmp_lt_u64_e32 vcc, s[14:15], v[0:1]
	v_cndmask_b32_e32 v21, v11, v21, vcc
	v_cndmask_b32_e64 v11, 0, 1, vcc
	v_lshrrev_b64 v[0:1], v11, v[0:1]
; %bb.199:
	s_andn2_saveexec_b64 s[0:1], s[0:1]
; %bb.200:
	v_bfe_u32 v21, v0, 23, 1
; %bb.201:
	s_or_b64 exec, exec, s[0:1]
	v_lshrrev_b64 v[0:1], 20, v[0:1]
	v_cmp_gt_i32_e32 vcc, 16, v21
	v_cndmask_b32_e32 v1, 0, v1, vcc
	v_cndmask_b32_e32 v0, 7, v0, vcc
	v_cmp_ne_u32_e32 vcc, 0, v21
	v_cmp_ne_u64_e64 s[0:1], 0, v[0:1]
	s_or_b64 s[0:1], vcc, s[0:1]
                                        ; implicit-def: $vgpr11
	s_and_saveexec_b64 s[14:15], s[0:1]
	s_xor_b64 s[0:1], exec, s[14:15]
; %bb.202:
	v_min_i32_e32 v1, 15, v21
	v_lshl_or_b32 v1, v1, 3, v20
	v_and_or_b32 v11, v0, 7, v1
                                        ; implicit-def: $vgpr20
; %bb.203:
	s_andn2_saveexec_b64 s[0:1], s[0:1]
; %bb.204:
	v_mov_b32_e32 v11, v20
; %bb.205:
	s_or_b64 exec, exec, s[0:1]
.LBB13_206:
	s_or_b64 exec, exec, s[12:13]
.LBB13_207:
	s_andn2_saveexec_b64 s[0:1], s[10:11]
	s_or_b64 exec, exec, s[0:1]
                                        ; implicit-def: $vgpr21
                                        ; implicit-def: $vgpr0_vgpr1
.LBB13_208:
	s_andn2_saveexec_b64 s[0:1], s[8:9]
; %bb.209:
	s_movk_i32 s8, 0x7f
	v_or_b32_sdwa v20, v21, s8 dst_sel:DWORD dst_unused:UNUSED_PAD src0_sel:BYTE_3 src1_sel:DWORD
	v_cmp_eq_u64_e32 vcc, 0, v[0:1]
	v_cndmask_b32_e32 v11, v20, v11, vcc
; %bb.210:
	s_or_b64 exec, exec, s[0:1]
	v_mul_f32_e32 v0, v12, v23
	v_max_f32_e32 v0, 0xc3e00000, v0
	v_min_f32_e32 v21, 0x43e00000, v0
	v_mov_b32_e32 v1, 0
	s_movk_i32 s0, 0x80
	v_and_b32_sdwa v20, v21, s0 dst_sel:DWORD dst_unused:UNUSED_PAD src0_sel:BYTE_3 src1_sel:DWORD
	v_and_b32_e32 v26, 0x7f800000, v21
	v_mov_b32_e32 v27, v1
	s_mov_b64 s[0:1], 0x7f800000
	v_and_b32_e32 v0, 0x7fffff, v21
	v_or_b32_e32 v12, 0x7e, v20
	v_cmp_ne_u64_e32 vcc, s[0:1], v[26:27]
	s_and_saveexec_b64 s[0:1], vcc
	s_xor_b64 s[8:9], exec, s[0:1]
	s_cbranch_execz .LBB13_224
; %bb.211:
	v_and_b32_e32 v26, 0x7fffffff, v21
	v_mov_b32_e32 v27, v1
	s_mov_b64 s[0:1], 0x43e00001
	v_cmp_gt_u64_e32 vcc, s[0:1], v[26:27]
	s_and_saveexec_b64 s[0:1], vcc
	s_xor_b64 s[10:11], exec, s[0:1]
	s_cbranch_execz .LBB13_223
; %bb.212:
	v_cmp_ne_u32_e32 vcc, 0, v21
	v_mov_b32_e32 v12, 0
	s_and_saveexec_b64 s[12:13], vcc
	s_cbranch_execz .LBB13_222
; %bb.213:
	v_bfe_u32 v12, v21, 23, 8
	s_movk_i32 s0, 0x7a
	v_sub_u32_e32 v25, 0x79, v12
	v_cmp_gt_u32_e32 vcc, s0, v12
	v_add_u32_e32 v21, 0xffffff81, v12
	v_cndmask_b32_e32 v25, 0, v25, vcc
	v_mov_b32_e32 v27, 0xffffff82
	v_cmp_eq_u32_e32 vcc, 0, v12
	v_cndmask_b32_e32 v12, v21, v27, vcc
	v_mov_b32_e32 v21, 0x78
	v_cndmask_b32_e32 v21, v25, v21, vcc
	v_or_b32_e32 v26, 0x800000, v0
	v_add_u32_e32 v25, 20, v21
	v_cndmask_b32_e32 v0, v26, v0, vcc
	v_lshlrev_b64 v[26:27], v25, -1
	v_not_b32_e32 v25, v27
	v_not_b32_e32 v26, v26
	v_and_b32_e32 v27, 0, v25
	v_and_b32_e32 v26, v0, v26
	v_add_u32_e32 v25, 19, v21
	v_lshrrev_b64 v[0:1], v21, v[0:1]
	v_lshlrev_b64 v[28:29], v25, 1
	v_lshrrev_b32_e32 v25, 23, v0
	v_add3_u32 v25, v21, v12, v25
	v_bfe_u32 v21, v0, 20, 1
	v_add_u32_e32 v21, -1, v21
	v_cmp_eq_u64_e32 vcc, v[26:27], v[28:29]
	v_cndmask_b32_e32 v21, 0, v21, vcc
	v_add_u32_e32 v21, v21, v0
	v_and_b32_e32 v21, 0xfffff, v21
	v_add_co_u32_e32 v0, vcc, v21, v0
	v_add_u32_e32 v12, 6, v25
	v_addc_co_u32_e32 v1, vcc, 0, v1, vcc
	v_cmp_ne_u32_e32 vcc, 0, v12
                                        ; implicit-def: $vgpr21
	s_and_saveexec_b64 s[0:1], vcc
	s_xor_b64 s[0:1], exec, s[0:1]
; %bb.214:
	s_mov_b64 s[14:15], 0xffffff
	v_add_u32_e32 v21, 7, v25
	v_cmp_lt_u64_e32 vcc, s[14:15], v[0:1]
	v_cndmask_b32_e32 v21, v12, v21, vcc
	v_cndmask_b32_e64 v12, 0, 1, vcc
	v_lshrrev_b64 v[0:1], v12, v[0:1]
; %bb.215:
	s_andn2_saveexec_b64 s[0:1], s[0:1]
; %bb.216:
	v_bfe_u32 v21, v0, 23, 1
; %bb.217:
	s_or_b64 exec, exec, s[0:1]
	v_lshrrev_b64 v[0:1], 20, v[0:1]
	v_cmp_gt_i32_e32 vcc, 16, v21
	v_cndmask_b32_e32 v1, 0, v1, vcc
	v_cndmask_b32_e32 v0, 7, v0, vcc
	v_cmp_ne_u32_e32 vcc, 0, v21
	v_cmp_ne_u64_e64 s[0:1], 0, v[0:1]
	s_or_b64 s[0:1], vcc, s[0:1]
                                        ; implicit-def: $vgpr12
	s_and_saveexec_b64 s[14:15], s[0:1]
	s_xor_b64 s[0:1], exec, s[14:15]
; %bb.218:
	v_min_i32_e32 v1, 15, v21
	v_lshl_or_b32 v1, v1, 3, v20
	v_and_or_b32 v12, v0, 7, v1
                                        ; implicit-def: $vgpr20
; %bb.219:
	s_andn2_saveexec_b64 s[0:1], s[0:1]
; %bb.220:
	v_mov_b32_e32 v12, v20
; %bb.221:
	s_or_b64 exec, exec, s[0:1]
.LBB13_222:
	s_or_b64 exec, exec, s[12:13]
.LBB13_223:
	s_andn2_saveexec_b64 s[0:1], s[10:11]
	s_or_b64 exec, exec, s[0:1]
                                        ; implicit-def: $vgpr21
                                        ; implicit-def: $vgpr0_vgpr1
.LBB13_224:
	s_andn2_saveexec_b64 s[0:1], s[8:9]
; %bb.225:
	s_movk_i32 s8, 0x7f
	v_or_b32_sdwa v20, v21, s8 dst_sel:DWORD dst_unused:UNUSED_PAD src0_sel:BYTE_3 src1_sel:DWORD
	v_cmp_eq_u64_e32 vcc, 0, v[0:1]
	v_cndmask_b32_e32 v12, v20, v12, vcc
; %bb.226:
	s_or_b64 exec, exec, s[0:1]
	v_mul_f32_e32 v0, v13, v23
	v_max_f32_e32 v0, 0xc3e00000, v0
	v_min_f32_e32 v21, 0x43e00000, v0
	v_mov_b32_e32 v1, 0
	s_movk_i32 s0, 0x80
	v_and_b32_sdwa v20, v21, s0 dst_sel:DWORD dst_unused:UNUSED_PAD src0_sel:BYTE_3 src1_sel:DWORD
	v_and_b32_e32 v26, 0x7f800000, v21
	v_mov_b32_e32 v27, v1
	s_mov_b64 s[0:1], 0x7f800000
	v_and_b32_e32 v0, 0x7fffff, v21
	v_or_b32_e32 v13, 0x7e, v20
	v_cmp_ne_u64_e32 vcc, s[0:1], v[26:27]
	s_and_saveexec_b64 s[0:1], vcc
	s_xor_b64 s[8:9], exec, s[0:1]
	s_cbranch_execz .LBB13_240
; %bb.227:
	v_and_b32_e32 v26, 0x7fffffff, v21
	v_mov_b32_e32 v27, v1
	s_mov_b64 s[0:1], 0x43e00001
	v_cmp_gt_u64_e32 vcc, s[0:1], v[26:27]
	s_and_saveexec_b64 s[0:1], vcc
	s_xor_b64 s[10:11], exec, s[0:1]
	s_cbranch_execz .LBB13_239
; %bb.228:
	v_cmp_ne_u32_e32 vcc, 0, v21
	v_mov_b32_e32 v13, 0
	s_and_saveexec_b64 s[12:13], vcc
	s_cbranch_execz .LBB13_238
; %bb.229:
	v_bfe_u32 v13, v21, 23, 8
	s_movk_i32 s0, 0x7a
	v_sub_u32_e32 v25, 0x79, v13
	v_cmp_gt_u32_e32 vcc, s0, v13
	v_add_u32_e32 v21, 0xffffff81, v13
	v_cndmask_b32_e32 v25, 0, v25, vcc
	v_mov_b32_e32 v27, 0xffffff82
	v_cmp_eq_u32_e32 vcc, 0, v13
	v_cndmask_b32_e32 v13, v21, v27, vcc
	v_mov_b32_e32 v21, 0x78
	v_cndmask_b32_e32 v21, v25, v21, vcc
	v_or_b32_e32 v26, 0x800000, v0
	v_add_u32_e32 v25, 20, v21
	v_cndmask_b32_e32 v0, v26, v0, vcc
	v_lshlrev_b64 v[26:27], v25, -1
	v_not_b32_e32 v25, v27
	v_not_b32_e32 v26, v26
	v_and_b32_e32 v27, 0, v25
	v_and_b32_e32 v26, v0, v26
	v_add_u32_e32 v25, 19, v21
	v_lshrrev_b64 v[0:1], v21, v[0:1]
	v_lshlrev_b64 v[28:29], v25, 1
	v_lshrrev_b32_e32 v25, 23, v0
	v_add3_u32 v25, v21, v13, v25
	v_bfe_u32 v21, v0, 20, 1
	v_add_u32_e32 v21, -1, v21
	v_cmp_eq_u64_e32 vcc, v[26:27], v[28:29]
	v_cndmask_b32_e32 v21, 0, v21, vcc
	v_add_u32_e32 v21, v21, v0
	v_and_b32_e32 v21, 0xfffff, v21
	v_add_co_u32_e32 v0, vcc, v21, v0
	v_add_u32_e32 v13, 6, v25
	v_addc_co_u32_e32 v1, vcc, 0, v1, vcc
	v_cmp_ne_u32_e32 vcc, 0, v13
                                        ; implicit-def: $vgpr21
	s_and_saveexec_b64 s[0:1], vcc
	s_xor_b64 s[0:1], exec, s[0:1]
; %bb.230:
	s_mov_b64 s[14:15], 0xffffff
	v_add_u32_e32 v21, 7, v25
	v_cmp_lt_u64_e32 vcc, s[14:15], v[0:1]
	v_cndmask_b32_e32 v21, v13, v21, vcc
	v_cndmask_b32_e64 v13, 0, 1, vcc
	v_lshrrev_b64 v[0:1], v13, v[0:1]
; %bb.231:
	s_andn2_saveexec_b64 s[0:1], s[0:1]
; %bb.232:
	v_bfe_u32 v21, v0, 23, 1
; %bb.233:
	s_or_b64 exec, exec, s[0:1]
	v_lshrrev_b64 v[0:1], 20, v[0:1]
	v_cmp_gt_i32_e32 vcc, 16, v21
	v_cndmask_b32_e32 v1, 0, v1, vcc
	v_cndmask_b32_e32 v0, 7, v0, vcc
	v_cmp_ne_u32_e32 vcc, 0, v21
	v_cmp_ne_u64_e64 s[0:1], 0, v[0:1]
	s_or_b64 s[0:1], vcc, s[0:1]
                                        ; implicit-def: $vgpr13
	s_and_saveexec_b64 s[14:15], s[0:1]
	s_xor_b64 s[0:1], exec, s[14:15]
; %bb.234:
	v_min_i32_e32 v1, 15, v21
	v_lshl_or_b32 v1, v1, 3, v20
	v_and_or_b32 v13, v0, 7, v1
                                        ; implicit-def: $vgpr20
; %bb.235:
	s_andn2_saveexec_b64 s[0:1], s[0:1]
; %bb.236:
	v_mov_b32_e32 v13, v20
; %bb.237:
	s_or_b64 exec, exec, s[0:1]
.LBB13_238:
	s_or_b64 exec, exec, s[12:13]
.LBB13_239:
	s_andn2_saveexec_b64 s[0:1], s[10:11]
	s_or_b64 exec, exec, s[0:1]
                                        ; implicit-def: $vgpr21
                                        ; implicit-def: $vgpr0_vgpr1
.LBB13_240:
	s_andn2_saveexec_b64 s[0:1], s[8:9]
; %bb.241:
	s_movk_i32 s8, 0x7f
	v_or_b32_sdwa v20, v21, s8 dst_sel:DWORD dst_unused:UNUSED_PAD src0_sel:BYTE_3 src1_sel:DWORD
	v_cmp_eq_u64_e32 vcc, 0, v[0:1]
	v_cndmask_b32_e32 v13, v20, v13, vcc
; %bb.242:
	s_or_b64 exec, exec, s[0:1]
	v_mul_f32_e32 v0, v14, v23
	v_max_f32_e32 v0, 0xc3e00000, v0
	v_min_f32_e32 v21, 0x43e00000, v0
	v_mov_b32_e32 v1, 0
	s_movk_i32 s0, 0x80
	v_and_b32_sdwa v20, v21, s0 dst_sel:DWORD dst_unused:UNUSED_PAD src0_sel:BYTE_3 src1_sel:DWORD
	v_and_b32_e32 v26, 0x7f800000, v21
	v_mov_b32_e32 v27, v1
	s_mov_b64 s[0:1], 0x7f800000
	v_and_b32_e32 v0, 0x7fffff, v21
	v_or_b32_e32 v14, 0x7e, v20
	v_cmp_ne_u64_e32 vcc, s[0:1], v[26:27]
	s_and_saveexec_b64 s[0:1], vcc
	s_xor_b64 s[8:9], exec, s[0:1]
	s_cbranch_execz .LBB13_256
; %bb.243:
	v_and_b32_e32 v26, 0x7fffffff, v21
	v_mov_b32_e32 v27, v1
	s_mov_b64 s[0:1], 0x43e00001
	v_cmp_gt_u64_e32 vcc, s[0:1], v[26:27]
	s_and_saveexec_b64 s[0:1], vcc
	s_xor_b64 s[10:11], exec, s[0:1]
	s_cbranch_execz .LBB13_255
; %bb.244:
	v_cmp_ne_u32_e32 vcc, 0, v21
	v_mov_b32_e32 v14, 0
	s_and_saveexec_b64 s[12:13], vcc
	s_cbranch_execz .LBB13_254
; %bb.245:
	v_bfe_u32 v14, v21, 23, 8
	s_movk_i32 s0, 0x7a
	v_sub_u32_e32 v25, 0x79, v14
	v_cmp_gt_u32_e32 vcc, s0, v14
	v_add_u32_e32 v21, 0xffffff81, v14
	v_cndmask_b32_e32 v25, 0, v25, vcc
	v_mov_b32_e32 v27, 0xffffff82
	v_cmp_eq_u32_e32 vcc, 0, v14
	v_cndmask_b32_e32 v14, v21, v27, vcc
	v_mov_b32_e32 v21, 0x78
	v_cndmask_b32_e32 v21, v25, v21, vcc
	v_or_b32_e32 v26, 0x800000, v0
	v_add_u32_e32 v25, 20, v21
	v_cndmask_b32_e32 v0, v26, v0, vcc
	v_lshlrev_b64 v[26:27], v25, -1
	v_not_b32_e32 v25, v27
	v_not_b32_e32 v26, v26
	v_and_b32_e32 v27, 0, v25
	v_and_b32_e32 v26, v0, v26
	v_add_u32_e32 v25, 19, v21
	v_lshrrev_b64 v[0:1], v21, v[0:1]
	v_lshlrev_b64 v[28:29], v25, 1
	v_lshrrev_b32_e32 v25, 23, v0
	v_add3_u32 v25, v21, v14, v25
	v_bfe_u32 v21, v0, 20, 1
	v_add_u32_e32 v21, -1, v21
	v_cmp_eq_u64_e32 vcc, v[26:27], v[28:29]
	v_cndmask_b32_e32 v21, 0, v21, vcc
	v_add_u32_e32 v21, v21, v0
	v_and_b32_e32 v21, 0xfffff, v21
	v_add_co_u32_e32 v0, vcc, v21, v0
	v_add_u32_e32 v14, 6, v25
	v_addc_co_u32_e32 v1, vcc, 0, v1, vcc
	v_cmp_ne_u32_e32 vcc, 0, v14
                                        ; implicit-def: $vgpr21
	s_and_saveexec_b64 s[0:1], vcc
	s_xor_b64 s[0:1], exec, s[0:1]
; %bb.246:
	s_mov_b64 s[14:15], 0xffffff
	v_add_u32_e32 v21, 7, v25
	v_cmp_lt_u64_e32 vcc, s[14:15], v[0:1]
	v_cndmask_b32_e32 v21, v14, v21, vcc
	v_cndmask_b32_e64 v14, 0, 1, vcc
	v_lshrrev_b64 v[0:1], v14, v[0:1]
; %bb.247:
	s_andn2_saveexec_b64 s[0:1], s[0:1]
; %bb.248:
	v_bfe_u32 v21, v0, 23, 1
; %bb.249:
	s_or_b64 exec, exec, s[0:1]
	v_lshrrev_b64 v[0:1], 20, v[0:1]
	v_cmp_gt_i32_e32 vcc, 16, v21
	v_cndmask_b32_e32 v1, 0, v1, vcc
	v_cndmask_b32_e32 v0, 7, v0, vcc
	v_cmp_ne_u32_e32 vcc, 0, v21
	v_cmp_ne_u64_e64 s[0:1], 0, v[0:1]
	s_or_b64 s[0:1], vcc, s[0:1]
                                        ; implicit-def: $vgpr14
	s_and_saveexec_b64 s[14:15], s[0:1]
	s_xor_b64 s[0:1], exec, s[14:15]
; %bb.250:
	v_min_i32_e32 v1, 15, v21
	v_lshl_or_b32 v1, v1, 3, v20
	v_and_or_b32 v14, v0, 7, v1
                                        ; implicit-def: $vgpr20
; %bb.251:
	s_andn2_saveexec_b64 s[0:1], s[0:1]
; %bb.252:
	v_mov_b32_e32 v14, v20
; %bb.253:
	s_or_b64 exec, exec, s[0:1]
.LBB13_254:
	s_or_b64 exec, exec, s[12:13]
.LBB13_255:
	s_andn2_saveexec_b64 s[0:1], s[10:11]
	s_or_b64 exec, exec, s[0:1]
                                        ; implicit-def: $vgpr21
                                        ; implicit-def: $vgpr0_vgpr1
.LBB13_256:
	s_andn2_saveexec_b64 s[0:1], s[8:9]
; %bb.257:
	s_movk_i32 s8, 0x7f
	v_or_b32_sdwa v20, v21, s8 dst_sel:DWORD dst_unused:UNUSED_PAD src0_sel:BYTE_3 src1_sel:DWORD
	v_cmp_eq_u64_e32 vcc, 0, v[0:1]
	v_cndmask_b32_e32 v14, v20, v14, vcc
; %bb.258:
	s_or_b64 exec, exec, s[0:1]
	s_load_dwordx2 s[8:9], s[4:5], 0x28
	v_mul_f32_e32 v0, v15, v23
	v_max_f32_e32 v0, 0xc3e00000, v0
	v_min_f32_e32 v20, 0x43e00000, v0
	v_mov_b32_e32 v1, 0
	s_movk_i32 s0, 0x80
	v_and_b32_sdwa v15, v20, s0 dst_sel:DWORD dst_unused:UNUSED_PAD src0_sel:BYTE_3 src1_sel:DWORD
	v_and_b32_e32 v26, 0x7f800000, v20
	v_mov_b32_e32 v27, v1
	s_mov_b64 s[0:1], 0x7f800000
	v_and_b32_e32 v0, 0x7fffff, v20
	v_or_b32_e32 v23, 0x7e, v15
	v_cmp_ne_u64_e32 vcc, s[0:1], v[26:27]
	s_and_saveexec_b64 s[0:1], vcc
	s_xor_b64 s[10:11], exec, s[0:1]
	s_cbranch_execz .LBB13_272
; %bb.259:
	v_and_b32_e32 v26, 0x7fffffff, v20
	v_mov_b32_e32 v27, v1
	s_mov_b64 s[0:1], 0x43e00001
	v_cmp_gt_u64_e32 vcc, s[0:1], v[26:27]
	s_and_saveexec_b64 s[0:1], vcc
	s_xor_b64 s[12:13], exec, s[0:1]
	s_cbranch_execz .LBB13_271
; %bb.260:
	v_cmp_ne_u32_e32 vcc, 0, v20
	v_mov_b32_e32 v23, 0
	s_and_saveexec_b64 s[14:15], vcc
	s_cbranch_execz .LBB13_270
; %bb.261:
	v_bfe_u32 v20, v20, 23, 8
	s_movk_i32 s0, 0x7a
	v_sub_u32_e32 v23, 0x79, v20
	v_cmp_gt_u32_e32 vcc, s0, v20
	v_add_u32_e32 v21, 0xffffff81, v20
	v_cndmask_b32_e32 v23, 0, v23, vcc
	v_cmp_eq_u32_e32 vcc, 0, v20
	v_mov_b32_e32 v20, 0x78
	v_cndmask_b32_e32 v23, v23, v20, vcc
	v_mov_b32_e32 v26, 0xffffff82
	v_add_u32_e32 v20, 20, v23
	v_or_b32_e32 v25, 0x800000, v0
	v_cndmask_b32_e32 v30, v21, v26, vcc
	v_lshlrev_b64 v[20:21], v20, -1
	v_cndmask_b32_e32 v0, v25, v0, vcc
	v_not_b32_e32 v20, v20
	v_and_b32_e32 v26, v0, v20
	v_add_u32_e32 v20, 19, v23
	v_lshrrev_b64 v[0:1], v23, v[0:1]
	v_not_b32_e32 v21, v21
	v_lshlrev_b64 v[28:29], v20, 1
	v_lshrrev_b32_e32 v20, 23, v0
	v_and_b32_e32 v27, 0, v21
	v_add3_u32 v23, v23, v30, v20
	v_bfe_u32 v20, v0, 20, 1
	v_add_u32_e32 v20, -1, v20
	v_cmp_eq_u64_e32 vcc, v[26:27], v[28:29]
	v_cndmask_b32_e32 v20, 0, v20, vcc
	v_add_u32_e32 v20, v20, v0
	v_and_b32_e32 v20, 0xfffff, v20
	v_add_co_u32_e32 v0, vcc, v20, v0
	v_add_u32_e32 v21, 6, v23
	v_addc_co_u32_e32 v1, vcc, 0, v1, vcc
	v_cmp_ne_u32_e32 vcc, 0, v21
                                        ; implicit-def: $vgpr20
	s_and_saveexec_b64 s[0:1], vcc
	s_xor_b64 s[0:1], exec, s[0:1]
; %bb.262:
	s_mov_b64 s[18:19], 0xffffff
	v_add_u32_e32 v20, 7, v23
	v_cmp_lt_u64_e32 vcc, s[18:19], v[0:1]
	v_cndmask_b32_e32 v20, v21, v20, vcc
	v_cndmask_b32_e64 v21, 0, 1, vcc
	v_lshrrev_b64 v[0:1], v21, v[0:1]
; %bb.263:
	s_andn2_saveexec_b64 s[0:1], s[0:1]
; %bb.264:
	v_bfe_u32 v20, v0, 23, 1
; %bb.265:
	s_or_b64 exec, exec, s[0:1]
	v_lshrrev_b64 v[0:1], 20, v[0:1]
	v_cmp_gt_i32_e32 vcc, 16, v20
	v_cndmask_b32_e32 v1, 0, v1, vcc
	v_cndmask_b32_e32 v0, 7, v0, vcc
	v_cmp_ne_u32_e32 vcc, 0, v20
	v_cmp_ne_u64_e64 s[0:1], 0, v[0:1]
	s_or_b64 s[0:1], vcc, s[0:1]
                                        ; implicit-def: $vgpr23
	s_and_saveexec_b64 s[18:19], s[0:1]
	s_xor_b64 s[0:1], exec, s[18:19]
; %bb.266:
	v_min_i32_e32 v1, 15, v20
	v_lshl_or_b32 v1, v1, 3, v15
	v_and_or_b32 v23, v0, 7, v1
                                        ; implicit-def: $vgpr15
; %bb.267:
	s_andn2_saveexec_b64 s[0:1], s[0:1]
; %bb.268:
	v_mov_b32_e32 v23, v15
; %bb.269:
	s_or_b64 exec, exec, s[0:1]
.LBB13_270:
	s_or_b64 exec, exec, s[14:15]
.LBB13_271:
	s_andn2_saveexec_b64 s[0:1], s[12:13]
	s_or_b64 exec, exec, s[0:1]
                                        ; implicit-def: $vgpr20
                                        ; implicit-def: $vgpr0_vgpr1
.LBB13_272:
	s_andn2_saveexec_b64 s[0:1], s[10:11]
; %bb.273:
	s_movk_i32 s10, 0x7f
	v_or_b32_sdwa v15, v20, s10 dst_sel:DWORD dst_unused:UNUSED_PAD src0_sel:BYTE_3 src1_sel:DWORD
	v_cmp_eq_u64_e32 vcc, 0, v[0:1]
	v_cndmask_b32_e32 v23, v15, v23, vcc
; %bb.274:
	s_or_b64 exec, exec, s[0:1]
	s_load_dwordx4 s[12:15], s[4:5], 0x70
	v_mul_lo_u32 v15, v19, s16
	v_mul_lo_u32 v20, v18, s17
	v_mad_u64_u32 v[0:1], s[10:11], v18, s16, 0
	v_add3_u32 v1, v1, v20, v15
	v_sub_co_u32_e32 v15, vcc, v16, v0
	v_subb_co_u32_e32 v16, vcc, v17, v1, vcc
	s_waitcnt lgkmcnt(0)
	v_pk_mov_b32 v[0:1], s[8:9], s[8:9] op_sel:[0,1]
	v_mad_u64_u32 v[0:1], s[8:9], v18, s12, v[0:1]
	v_mul_lo_u32 v17, v18, s13
	v_mul_lo_u32 v18, v19, s12
	v_add3_u32 v1, v18, v1, v17
	v_mad_u64_u32 v[20:21], s[8:9], v15, s14, v[0:1]
	v_mul_lo_u32 v0, v15, s15
	v_mul_lo_u32 v1, v16, s14
	v_add3_u32 v21, v1, v21, v0
	v_lshlrev_b16_e32 v0, 8, v24
	v_lshlrev_b16_e32 v1, 8, v3
	v_or_b32_sdwa v0, v22, v0 dst_sel:DWORD dst_unused:UNUSED_PAD src0_sel:BYTE_0 src1_sel:DWORD
	v_or_b32_sdwa v1, v2, v1 dst_sel:WORD_1 dst_unused:UNUSED_PAD src0_sel:BYTE_0 src1_sel:DWORD
	v_or_b32_sdwa v16, v0, v1 dst_sel:DWORD dst_unused:UNUSED_PAD src0_sel:WORD_0 src1_sel:DWORD
	v_lshlrev_b16_e32 v0, 8, v5
	v_lshlrev_b16_e32 v1, 8, v7
	v_or_b32_sdwa v0, v4, v0 dst_sel:DWORD dst_unused:UNUSED_PAD src0_sel:BYTE_0 src1_sel:DWORD
	v_or_b32_sdwa v1, v6, v1 dst_sel:WORD_1 dst_unused:UNUSED_PAD src0_sel:BYTE_0 src1_sel:DWORD
	v_or_b32_sdwa v17, v0, v1 dst_sel:DWORD dst_unused:UNUSED_PAD src0_sel:WORD_0 src1_sel:DWORD
	;; [unrolled: 5-line block ×3, first 2 shown]
	v_lshlrev_b16_e32 v0, 8, v13
	v_lshlrev_b16_e32 v1, 8, v23
	v_or_b32_sdwa v0, v12, v0 dst_sel:DWORD dst_unused:UNUSED_PAD src0_sel:BYTE_0 src1_sel:DWORD
	v_or_b32_sdwa v1, v14, v1 dst_sel:WORD_1 dst_unused:UNUSED_PAD src0_sel:BYTE_0 src1_sel:DWORD
	s_mov_b64 s[0:1], exec
	v_or_b32_sdwa v19, v0, v1 dst_sel:DWORD dst_unused:UNUSED_PAD src0_sel:WORD_0 src1_sel:DWORD
.LBB13_275:
	s_or_b64 exec, exec, s[6:7]
	s_and_b64 s[6:7], s[0:1], exec
                                        ; implicit-def: $vgpr32_vgpr33
                                        ; implicit-def: $vgpr34
                                        ; implicit-def: $vgpr0_vgpr1_vgpr2_vgpr3_vgpr4_vgpr5_vgpr6_vgpr7_vgpr8_vgpr9_vgpr10_vgpr11_vgpr12_vgpr13_vgpr14_vgpr15
	s_andn2_saveexec_b64 s[2:3], s[2:3]
	s_cbranch_execz .LBB13_10
.LBB13_276:
	s_load_dwordx2 s[0:1], s[4:5], 0x50
	v_mov_b32_e32 v17, 0
	s_movk_i32 s8, 0x80
	v_mov_b32_e32 v21, v17
	s_waitcnt lgkmcnt(0)
	s_load_dword s14, s[0:1], 0x0
	s_mov_b64 s[0:1], 0x7f800000
	s_waitcnt lgkmcnt(0)
	v_mul_f32_e32 v0, s14, v0
	v_max_f32_e32 v0, 0xc3e00000, v0
	v_min_f32_e32 v19, 0x43e00000, v0
	v_and_b32_sdwa v0, v19, s8 dst_sel:DWORD dst_unused:UNUSED_PAD src0_sel:BYTE_3 src1_sel:DWORD
	v_and_b32_e32 v20, 0x7f800000, v19
	v_and_b32_e32 v16, 0x7fffff, v19
	v_or_b32_e32 v18, 0x7e, v0
	v_cmp_ne_u64_e32 vcc, s[0:1], v[20:21]
	s_and_saveexec_b64 s[0:1], vcc
	s_xor_b64 s[8:9], exec, s[0:1]
	s_cbranch_execz .LBB13_290
; %bb.277:
	v_and_b32_e32 v20, 0x7fffffff, v19
	v_mov_b32_e32 v21, v17
	s_mov_b64 s[0:1], 0x43e00001
	v_cmp_gt_u64_e32 vcc, s[0:1], v[20:21]
	s_and_saveexec_b64 s[0:1], vcc
	s_xor_b64 s[10:11], exec, s[0:1]
	s_cbranch_execz .LBB13_289
; %bb.278:
	v_cmp_ne_u32_e32 vcc, 0, v19
	v_mov_b32_e32 v18, 0
	s_and_saveexec_b64 s[12:13], vcc
	s_cbranch_execz .LBB13_288
; %bb.279:
	v_bfe_u32 v18, v19, 23, 8
	s_movk_i32 s0, 0x7a
	v_sub_u32_e32 v20, 0x79, v18
	v_cmp_gt_u32_e32 vcc, s0, v18
	v_add_u32_e32 v19, 0xffffff81, v18
	v_cndmask_b32_e32 v20, 0, v20, vcc
	v_cmp_eq_u32_e32 vcc, 0, v18
	v_mov_b32_e32 v18, 0x78
	v_cndmask_b32_e32 v20, v20, v18, vcc
	v_mov_b32_e32 v22, 0xffffff82
	v_add_u32_e32 v18, 20, v20
	v_or_b32_e32 v21, 0x800000, v16
	v_cndmask_b32_e32 v26, v19, v22, vcc
	v_lshlrev_b64 v[18:19], v18, -1
	v_cndmask_b32_e32 v16, v21, v16, vcc
	v_not_b32_e32 v18, v18
	v_not_b32_e32 v19, v19
	v_and_b32_e32 v22, v16, v18
	v_add_u32_e32 v18, 19, v20
	v_lshrrev_b64 v[16:17], v20, v[16:17]
	v_and_b32_e32 v23, 0, v19
	v_lshlrev_b64 v[24:25], v18, 1
	v_bfe_u32 v19, v16, 20, 1
	v_add_u32_e32 v19, -1, v19
	v_cmp_eq_u64_e32 vcc, v[22:23], v[24:25]
	v_cndmask_b32_e32 v19, 0, v19, vcc
	v_add_u32_e32 v19, v19, v16
	v_lshrrev_b32_e32 v18, 23, v16
	v_and_b32_e32 v19, 0xfffff, v19
	v_add3_u32 v20, v20, v26, v18
	v_add_co_u32_e32 v16, vcc, v19, v16
	v_add_u32_e32 v18, 6, v20
	v_addc_co_u32_e32 v17, vcc, 0, v17, vcc
	v_cmp_ne_u32_e32 vcc, 0, v18
                                        ; implicit-def: $vgpr19
	s_and_saveexec_b64 s[0:1], vcc
	s_xor_b64 s[0:1], exec, s[0:1]
; %bb.280:
	s_mov_b64 s[16:17], 0xffffff
	v_add_u32_e32 v19, 7, v20
	v_cmp_lt_u64_e32 vcc, s[16:17], v[16:17]
	v_cndmask_b32_e32 v19, v18, v19, vcc
	v_cndmask_b32_e64 v18, 0, 1, vcc
	v_lshrrev_b64 v[16:17], v18, v[16:17]
; %bb.281:
	s_andn2_saveexec_b64 s[0:1], s[0:1]
; %bb.282:
	v_bfe_u32 v19, v16, 23, 1
; %bb.283:
	s_or_b64 exec, exec, s[0:1]
	v_lshrrev_b64 v[16:17], 20, v[16:17]
	v_cmp_gt_i32_e32 vcc, 16, v19
	v_cndmask_b32_e32 v17, 0, v17, vcc
	v_cndmask_b32_e32 v16, 7, v16, vcc
	v_cmp_ne_u32_e32 vcc, 0, v19
	v_cmp_ne_u64_e64 s[0:1], 0, v[16:17]
	s_or_b64 s[0:1], vcc, s[0:1]
                                        ; implicit-def: $vgpr18
	s_and_saveexec_b64 s[16:17], s[0:1]
	s_xor_b64 s[0:1], exec, s[16:17]
; %bb.284:
	v_min_i32_e32 v17, 15, v19
	v_lshl_or_b32 v0, v17, 3, v0
	v_and_or_b32 v18, v16, 7, v0
                                        ; implicit-def: $vgpr0
; %bb.285:
	s_andn2_saveexec_b64 s[0:1], s[0:1]
; %bb.286:
	v_mov_b32_e32 v18, v0
; %bb.287:
	s_or_b64 exec, exec, s[0:1]
.LBB13_288:
	s_or_b64 exec, exec, s[12:13]
.LBB13_289:
	s_andn2_saveexec_b64 s[0:1], s[10:11]
	s_or_b64 exec, exec, s[0:1]
                                        ; implicit-def: $vgpr19
                                        ; implicit-def: $vgpr16_vgpr17
.LBB13_290:
	s_andn2_saveexec_b64 s[0:1], s[8:9]
; %bb.291:
	s_movk_i32 s8, 0x7f
	v_or_b32_sdwa v0, v19, s8 dst_sel:DWORD dst_unused:UNUSED_PAD src0_sel:BYTE_3 src1_sel:DWORD
	v_cmp_eq_u64_e32 vcc, 0, v[16:17]
	v_cndmask_b32_e32 v18, v0, v18, vcc
; %bb.292:
	s_or_b64 exec, exec, s[0:1]
	v_mul_f32_e32 v0, s14, v1
	v_max_f32_e32 v0, 0xc3e00000, v0
	v_min_f32_e32 v19, 0x43e00000, v0
	v_mov_b32_e32 v1, 0
	s_movk_i32 s0, 0x80
	v_and_b32_sdwa v17, v19, s0 dst_sel:DWORD dst_unused:UNUSED_PAD src0_sel:BYTE_3 src1_sel:DWORD
	v_and_b32_e32 v20, 0x7f800000, v19
	v_mov_b32_e32 v21, v1
	s_mov_b64 s[0:1], 0x7f800000
	v_and_b32_e32 v0, 0x7fffff, v19
	v_or_b32_e32 v16, 0x7e, v17
	v_cmp_ne_u64_e32 vcc, s[0:1], v[20:21]
	s_and_saveexec_b64 s[0:1], vcc
	s_xor_b64 s[8:9], exec, s[0:1]
	s_cbranch_execz .LBB13_306
; %bb.293:
	v_and_b32_e32 v20, 0x7fffffff, v19
	v_mov_b32_e32 v21, v1
	s_mov_b64 s[0:1], 0x43e00001
	v_cmp_gt_u64_e32 vcc, s[0:1], v[20:21]
	s_and_saveexec_b64 s[0:1], vcc
	s_xor_b64 s[10:11], exec, s[0:1]
	s_cbranch_execz .LBB13_305
; %bb.294:
	v_cmp_ne_u32_e32 vcc, 0, v19
	v_mov_b32_e32 v16, 0
	s_and_saveexec_b64 s[12:13], vcc
	s_cbranch_execz .LBB13_304
; %bb.295:
	v_bfe_u32 v16, v19, 23, 8
	s_movk_i32 s0, 0x7a
	v_sub_u32_e32 v20, 0x79, v16
	v_cmp_gt_u32_e32 vcc, s0, v16
	v_add_u32_e32 v19, 0xffffff81, v16
	v_cndmask_b32_e32 v20, 0, v20, vcc
	v_mov_b32_e32 v22, 0xffffff82
	v_cmp_eq_u32_e32 vcc, 0, v16
	v_cndmask_b32_e32 v16, v19, v22, vcc
	v_mov_b32_e32 v19, 0x78
	v_cndmask_b32_e32 v19, v20, v19, vcc
	v_or_b32_e32 v21, 0x800000, v0
	v_add_u32_e32 v20, 20, v19
	v_cndmask_b32_e32 v0, v21, v0, vcc
	v_lshlrev_b64 v[20:21], v20, -1
	v_not_b32_e32 v20, v20
	v_and_b32_e32 v22, v0, v20
	v_add_u32_e32 v20, 19, v19
	v_lshrrev_b64 v[0:1], v19, v[0:1]
	v_not_b32_e32 v21, v21
	v_lshlrev_b64 v[24:25], v20, 1
	v_lshrrev_b32_e32 v20, 23, v0
	v_and_b32_e32 v23, 0, v21
	v_add3_u32 v20, v19, v16, v20
	v_bfe_u32 v19, v0, 20, 1
	v_add_u32_e32 v19, -1, v19
	v_cmp_eq_u64_e32 vcc, v[22:23], v[24:25]
	v_cndmask_b32_e32 v19, 0, v19, vcc
	v_add_u32_e32 v19, v19, v0
	v_and_b32_e32 v19, 0xfffff, v19
	v_add_co_u32_e32 v0, vcc, v19, v0
	v_add_u32_e32 v16, 6, v20
	v_addc_co_u32_e32 v1, vcc, 0, v1, vcc
	v_cmp_ne_u32_e32 vcc, 0, v16
                                        ; implicit-def: $vgpr19
	s_and_saveexec_b64 s[0:1], vcc
	s_xor_b64 s[0:1], exec, s[0:1]
; %bb.296:
	s_mov_b64 s[16:17], 0xffffff
	v_add_u32_e32 v19, 7, v20
	v_cmp_lt_u64_e32 vcc, s[16:17], v[0:1]
	v_cndmask_b32_e32 v19, v16, v19, vcc
	v_cndmask_b32_e64 v16, 0, 1, vcc
	v_lshrrev_b64 v[0:1], v16, v[0:1]
; %bb.297:
	s_andn2_saveexec_b64 s[0:1], s[0:1]
; %bb.298:
	v_bfe_u32 v19, v0, 23, 1
; %bb.299:
	s_or_b64 exec, exec, s[0:1]
	v_lshrrev_b64 v[0:1], 20, v[0:1]
	v_cmp_gt_i32_e32 vcc, 16, v19
	v_cndmask_b32_e32 v1, 0, v1, vcc
	v_cndmask_b32_e32 v0, 7, v0, vcc
	v_cmp_ne_u32_e32 vcc, 0, v19
	v_cmp_ne_u64_e64 s[0:1], 0, v[0:1]
	s_or_b64 s[0:1], vcc, s[0:1]
                                        ; implicit-def: $vgpr16
	s_and_saveexec_b64 s[16:17], s[0:1]
	s_xor_b64 s[0:1], exec, s[16:17]
; %bb.300:
	v_min_i32_e32 v1, 15, v19
	v_lshl_or_b32 v1, v1, 3, v17
	v_and_or_b32 v16, v0, 7, v1
                                        ; implicit-def: $vgpr17
; %bb.301:
	s_andn2_saveexec_b64 s[0:1], s[0:1]
; %bb.302:
	v_mov_b32_e32 v16, v17
; %bb.303:
	s_or_b64 exec, exec, s[0:1]
.LBB13_304:
	s_or_b64 exec, exec, s[12:13]
.LBB13_305:
	s_andn2_saveexec_b64 s[0:1], s[10:11]
	s_or_b64 exec, exec, s[0:1]
                                        ; implicit-def: $vgpr19
                                        ; implicit-def: $vgpr0_vgpr1
.LBB13_306:
	s_andn2_saveexec_b64 s[0:1], s[8:9]
; %bb.307:
	s_movk_i32 s8, 0x7f
	v_or_b32_sdwa v17, v19, s8 dst_sel:DWORD dst_unused:UNUSED_PAD src0_sel:BYTE_3 src1_sel:DWORD
	v_cmp_eq_u64_e32 vcc, 0, v[0:1]
	v_cndmask_b32_e32 v16, v17, v16, vcc
; %bb.308:
	s_or_b64 exec, exec, s[0:1]
	v_mul_f32_e32 v0, s14, v2
	v_max_f32_e32 v0, 0xc3e00000, v0
	v_min_f32_e32 v19, 0x43e00000, v0
	v_mov_b32_e32 v1, 0
	s_movk_i32 s0, 0x80
	v_and_b32_sdwa v17, v19, s0 dst_sel:DWORD dst_unused:UNUSED_PAD src0_sel:BYTE_3 src1_sel:DWORD
	v_and_b32_e32 v20, 0x7f800000, v19
	v_mov_b32_e32 v21, v1
	s_mov_b64 s[0:1], 0x7f800000
	v_and_b32_e32 v0, 0x7fffff, v19
	v_or_b32_e32 v2, 0x7e, v17
	v_cmp_ne_u64_e32 vcc, s[0:1], v[20:21]
	s_and_saveexec_b64 s[0:1], vcc
	s_xor_b64 s[8:9], exec, s[0:1]
	s_cbranch_execz .LBB13_322
; %bb.309:
	v_and_b32_e32 v20, 0x7fffffff, v19
	v_mov_b32_e32 v21, v1
	s_mov_b64 s[0:1], 0x43e00001
	v_cmp_gt_u64_e32 vcc, s[0:1], v[20:21]
	s_and_saveexec_b64 s[0:1], vcc
	s_xor_b64 s[10:11], exec, s[0:1]
	s_cbranch_execz .LBB13_321
; %bb.310:
	v_cmp_ne_u32_e32 vcc, 0, v19
	v_mov_b32_e32 v2, 0
	s_and_saveexec_b64 s[12:13], vcc
	s_cbranch_execz .LBB13_320
; %bb.311:
	v_bfe_u32 v2, v19, 23, 8
	s_movk_i32 s0, 0x7a
	v_sub_u32_e32 v20, 0x79, v2
	v_cmp_gt_u32_e32 vcc, s0, v2
	v_add_u32_e32 v19, 0xffffff81, v2
	v_cndmask_b32_e32 v20, 0, v20, vcc
	v_mov_b32_e32 v22, 0xffffff82
	v_cmp_eq_u32_e32 vcc, 0, v2
	v_cndmask_b32_e32 v2, v19, v22, vcc
	v_mov_b32_e32 v19, 0x78
	v_cndmask_b32_e32 v19, v20, v19, vcc
	v_or_b32_e32 v21, 0x800000, v0
	v_add_u32_e32 v20, 20, v19
	v_cndmask_b32_e32 v0, v21, v0, vcc
	v_lshlrev_b64 v[20:21], v20, -1
	v_not_b32_e32 v20, v20
	v_and_b32_e32 v22, v0, v20
	v_add_u32_e32 v20, 19, v19
	v_lshrrev_b64 v[0:1], v19, v[0:1]
	v_not_b32_e32 v21, v21
	v_lshlrev_b64 v[24:25], v20, 1
	v_lshrrev_b32_e32 v20, 23, v0
	v_and_b32_e32 v23, 0, v21
	v_add3_u32 v20, v19, v2, v20
	v_bfe_u32 v19, v0, 20, 1
	v_add_u32_e32 v19, -1, v19
	v_cmp_eq_u64_e32 vcc, v[22:23], v[24:25]
	v_cndmask_b32_e32 v19, 0, v19, vcc
	v_add_u32_e32 v19, v19, v0
	v_and_b32_e32 v19, 0xfffff, v19
	v_add_co_u32_e32 v0, vcc, v19, v0
	v_add_u32_e32 v2, 6, v20
	v_addc_co_u32_e32 v1, vcc, 0, v1, vcc
	v_cmp_ne_u32_e32 vcc, 0, v2
                                        ; implicit-def: $vgpr19
	s_and_saveexec_b64 s[0:1], vcc
	s_xor_b64 s[0:1], exec, s[0:1]
; %bb.312:
	s_mov_b64 s[16:17], 0xffffff
	v_add_u32_e32 v19, 7, v20
	v_cmp_lt_u64_e32 vcc, s[16:17], v[0:1]
	v_cndmask_b32_e32 v19, v2, v19, vcc
	v_cndmask_b32_e64 v2, 0, 1, vcc
	v_lshrrev_b64 v[0:1], v2, v[0:1]
; %bb.313:
	s_andn2_saveexec_b64 s[0:1], s[0:1]
; %bb.314:
	v_bfe_u32 v19, v0, 23, 1
; %bb.315:
	s_or_b64 exec, exec, s[0:1]
	v_lshrrev_b64 v[0:1], 20, v[0:1]
	v_cmp_gt_i32_e32 vcc, 16, v19
	v_cndmask_b32_e32 v1, 0, v1, vcc
	v_cndmask_b32_e32 v0, 7, v0, vcc
	v_cmp_ne_u32_e32 vcc, 0, v19
	v_cmp_ne_u64_e64 s[0:1], 0, v[0:1]
	s_or_b64 s[0:1], vcc, s[0:1]
                                        ; implicit-def: $vgpr2
	s_and_saveexec_b64 s[16:17], s[0:1]
	s_xor_b64 s[0:1], exec, s[16:17]
; %bb.316:
	v_min_i32_e32 v1, 15, v19
	v_lshl_or_b32 v1, v1, 3, v17
	v_and_or_b32 v2, v0, 7, v1
                                        ; implicit-def: $vgpr17
; %bb.317:
	s_andn2_saveexec_b64 s[0:1], s[0:1]
; %bb.318:
	v_mov_b32_e32 v2, v17
; %bb.319:
	s_or_b64 exec, exec, s[0:1]
.LBB13_320:
	s_or_b64 exec, exec, s[12:13]
.LBB13_321:
	s_andn2_saveexec_b64 s[0:1], s[10:11]
	s_or_b64 exec, exec, s[0:1]
                                        ; implicit-def: $vgpr19
                                        ; implicit-def: $vgpr0_vgpr1
.LBB13_322:
	s_andn2_saveexec_b64 s[0:1], s[8:9]
; %bb.323:
	s_movk_i32 s8, 0x7f
	v_or_b32_sdwa v17, v19, s8 dst_sel:DWORD dst_unused:UNUSED_PAD src0_sel:BYTE_3 src1_sel:DWORD
	v_cmp_eq_u64_e32 vcc, 0, v[0:1]
	v_cndmask_b32_e32 v2, v17, v2, vcc
; %bb.324:
	s_or_b64 exec, exec, s[0:1]
	v_mul_f32_e32 v0, s14, v3
	v_max_f32_e32 v0, 0xc3e00000, v0
	v_min_f32_e32 v19, 0x43e00000, v0
	v_mov_b32_e32 v1, 0
	s_movk_i32 s0, 0x80
	v_and_b32_sdwa v17, v19, s0 dst_sel:DWORD dst_unused:UNUSED_PAD src0_sel:BYTE_3 src1_sel:DWORD
	v_and_b32_e32 v20, 0x7f800000, v19
	v_mov_b32_e32 v21, v1
	s_mov_b64 s[0:1], 0x7f800000
	v_and_b32_e32 v0, 0x7fffff, v19
	v_or_b32_e32 v3, 0x7e, v17
	v_cmp_ne_u64_e32 vcc, s[0:1], v[20:21]
	s_and_saveexec_b64 s[0:1], vcc
	s_xor_b64 s[8:9], exec, s[0:1]
	s_cbranch_execz .LBB13_338
; %bb.325:
	v_and_b32_e32 v20, 0x7fffffff, v19
	v_mov_b32_e32 v21, v1
	s_mov_b64 s[0:1], 0x43e00001
	v_cmp_gt_u64_e32 vcc, s[0:1], v[20:21]
	s_and_saveexec_b64 s[0:1], vcc
	s_xor_b64 s[10:11], exec, s[0:1]
	s_cbranch_execz .LBB13_337
; %bb.326:
	v_cmp_ne_u32_e32 vcc, 0, v19
	v_mov_b32_e32 v3, 0
	s_and_saveexec_b64 s[12:13], vcc
	s_cbranch_execz .LBB13_336
; %bb.327:
	v_bfe_u32 v3, v19, 23, 8
	s_movk_i32 s0, 0x7a
	v_sub_u32_e32 v20, 0x79, v3
	v_cmp_gt_u32_e32 vcc, s0, v3
	v_add_u32_e32 v19, 0xffffff81, v3
	v_cndmask_b32_e32 v20, 0, v20, vcc
	v_mov_b32_e32 v22, 0xffffff82
	v_cmp_eq_u32_e32 vcc, 0, v3
	v_cndmask_b32_e32 v3, v19, v22, vcc
	v_mov_b32_e32 v19, 0x78
	v_cndmask_b32_e32 v19, v20, v19, vcc
	v_or_b32_e32 v21, 0x800000, v0
	v_add_u32_e32 v20, 20, v19
	v_cndmask_b32_e32 v0, v21, v0, vcc
	v_lshlrev_b64 v[20:21], v20, -1
	v_not_b32_e32 v20, v20
	v_and_b32_e32 v22, v0, v20
	v_add_u32_e32 v20, 19, v19
	v_lshrrev_b64 v[0:1], v19, v[0:1]
	v_not_b32_e32 v21, v21
	v_lshlrev_b64 v[24:25], v20, 1
	v_lshrrev_b32_e32 v20, 23, v0
	v_and_b32_e32 v23, 0, v21
	v_add3_u32 v20, v19, v3, v20
	v_bfe_u32 v19, v0, 20, 1
	v_add_u32_e32 v19, -1, v19
	v_cmp_eq_u64_e32 vcc, v[22:23], v[24:25]
	v_cndmask_b32_e32 v19, 0, v19, vcc
	v_add_u32_e32 v19, v19, v0
	v_and_b32_e32 v19, 0xfffff, v19
	v_add_co_u32_e32 v0, vcc, v19, v0
	v_add_u32_e32 v3, 6, v20
	v_addc_co_u32_e32 v1, vcc, 0, v1, vcc
	v_cmp_ne_u32_e32 vcc, 0, v3
                                        ; implicit-def: $vgpr19
	s_and_saveexec_b64 s[0:1], vcc
	s_xor_b64 s[0:1], exec, s[0:1]
; %bb.328:
	s_mov_b64 s[16:17], 0xffffff
	v_add_u32_e32 v19, 7, v20
	v_cmp_lt_u64_e32 vcc, s[16:17], v[0:1]
	v_cndmask_b32_e32 v19, v3, v19, vcc
	v_cndmask_b32_e64 v3, 0, 1, vcc
	v_lshrrev_b64 v[0:1], v3, v[0:1]
; %bb.329:
	s_andn2_saveexec_b64 s[0:1], s[0:1]
; %bb.330:
	v_bfe_u32 v19, v0, 23, 1
; %bb.331:
	s_or_b64 exec, exec, s[0:1]
	v_lshrrev_b64 v[0:1], 20, v[0:1]
	v_cmp_gt_i32_e32 vcc, 16, v19
	v_cndmask_b32_e32 v1, 0, v1, vcc
	v_cndmask_b32_e32 v0, 7, v0, vcc
	v_cmp_ne_u32_e32 vcc, 0, v19
	v_cmp_ne_u64_e64 s[0:1], 0, v[0:1]
	s_or_b64 s[0:1], vcc, s[0:1]
                                        ; implicit-def: $vgpr3
	s_and_saveexec_b64 s[16:17], s[0:1]
	s_xor_b64 s[0:1], exec, s[16:17]
; %bb.332:
	v_min_i32_e32 v1, 15, v19
	v_lshl_or_b32 v1, v1, 3, v17
	v_and_or_b32 v3, v0, 7, v1
                                        ; implicit-def: $vgpr17
; %bb.333:
	s_andn2_saveexec_b64 s[0:1], s[0:1]
; %bb.334:
	v_mov_b32_e32 v3, v17
; %bb.335:
	s_or_b64 exec, exec, s[0:1]
.LBB13_336:
	s_or_b64 exec, exec, s[12:13]
.LBB13_337:
	s_andn2_saveexec_b64 s[0:1], s[10:11]
	s_or_b64 exec, exec, s[0:1]
                                        ; implicit-def: $vgpr19
                                        ; implicit-def: $vgpr0_vgpr1
.LBB13_338:
	s_andn2_saveexec_b64 s[0:1], s[8:9]
; %bb.339:
	s_movk_i32 s8, 0x7f
	v_or_b32_sdwa v17, v19, s8 dst_sel:DWORD dst_unused:UNUSED_PAD src0_sel:BYTE_3 src1_sel:DWORD
	v_cmp_eq_u64_e32 vcc, 0, v[0:1]
	v_cndmask_b32_e32 v3, v17, v3, vcc
; %bb.340:
	s_or_b64 exec, exec, s[0:1]
	v_mul_f32_e32 v0, s14, v4
	v_max_f32_e32 v0, 0xc3e00000, v0
	v_min_f32_e32 v19, 0x43e00000, v0
	v_mov_b32_e32 v1, 0
	s_movk_i32 s0, 0x80
	v_and_b32_sdwa v17, v19, s0 dst_sel:DWORD dst_unused:UNUSED_PAD src0_sel:BYTE_3 src1_sel:DWORD
	v_and_b32_e32 v20, 0x7f800000, v19
	v_mov_b32_e32 v21, v1
	s_mov_b64 s[0:1], 0x7f800000
	v_and_b32_e32 v0, 0x7fffff, v19
	v_or_b32_e32 v4, 0x7e, v17
	v_cmp_ne_u64_e32 vcc, s[0:1], v[20:21]
	s_and_saveexec_b64 s[0:1], vcc
	s_xor_b64 s[8:9], exec, s[0:1]
	s_cbranch_execz .LBB13_354
; %bb.341:
	v_and_b32_e32 v20, 0x7fffffff, v19
	v_mov_b32_e32 v21, v1
	s_mov_b64 s[0:1], 0x43e00001
	v_cmp_gt_u64_e32 vcc, s[0:1], v[20:21]
	s_and_saveexec_b64 s[0:1], vcc
	s_xor_b64 s[10:11], exec, s[0:1]
	s_cbranch_execz .LBB13_353
; %bb.342:
	v_cmp_ne_u32_e32 vcc, 0, v19
	v_mov_b32_e32 v4, 0
	s_and_saveexec_b64 s[12:13], vcc
	s_cbranch_execz .LBB13_352
; %bb.343:
	v_bfe_u32 v4, v19, 23, 8
	s_movk_i32 s0, 0x7a
	v_sub_u32_e32 v20, 0x79, v4
	v_cmp_gt_u32_e32 vcc, s0, v4
	v_add_u32_e32 v19, 0xffffff81, v4
	v_cndmask_b32_e32 v20, 0, v20, vcc
	v_mov_b32_e32 v22, 0xffffff82
	v_cmp_eq_u32_e32 vcc, 0, v4
	v_cndmask_b32_e32 v4, v19, v22, vcc
	v_mov_b32_e32 v19, 0x78
	v_cndmask_b32_e32 v19, v20, v19, vcc
	v_or_b32_e32 v21, 0x800000, v0
	v_add_u32_e32 v20, 20, v19
	v_cndmask_b32_e32 v0, v21, v0, vcc
	v_lshlrev_b64 v[20:21], v20, -1
	v_not_b32_e32 v20, v20
	v_and_b32_e32 v22, v0, v20
	v_add_u32_e32 v20, 19, v19
	v_lshrrev_b64 v[0:1], v19, v[0:1]
	v_not_b32_e32 v21, v21
	v_lshlrev_b64 v[24:25], v20, 1
	v_lshrrev_b32_e32 v20, 23, v0
	v_and_b32_e32 v23, 0, v21
	v_add3_u32 v20, v19, v4, v20
	v_bfe_u32 v19, v0, 20, 1
	v_add_u32_e32 v19, -1, v19
	v_cmp_eq_u64_e32 vcc, v[22:23], v[24:25]
	v_cndmask_b32_e32 v19, 0, v19, vcc
	v_add_u32_e32 v19, v19, v0
	v_and_b32_e32 v19, 0xfffff, v19
	v_add_co_u32_e32 v0, vcc, v19, v0
	v_add_u32_e32 v4, 6, v20
	v_addc_co_u32_e32 v1, vcc, 0, v1, vcc
	v_cmp_ne_u32_e32 vcc, 0, v4
                                        ; implicit-def: $vgpr19
	s_and_saveexec_b64 s[0:1], vcc
	s_xor_b64 s[0:1], exec, s[0:1]
; %bb.344:
	s_mov_b64 s[16:17], 0xffffff
	v_add_u32_e32 v19, 7, v20
	v_cmp_lt_u64_e32 vcc, s[16:17], v[0:1]
	v_cndmask_b32_e32 v19, v4, v19, vcc
	v_cndmask_b32_e64 v4, 0, 1, vcc
	v_lshrrev_b64 v[0:1], v4, v[0:1]
; %bb.345:
	s_andn2_saveexec_b64 s[0:1], s[0:1]
; %bb.346:
	v_bfe_u32 v19, v0, 23, 1
; %bb.347:
	s_or_b64 exec, exec, s[0:1]
	v_lshrrev_b64 v[0:1], 20, v[0:1]
	v_cmp_gt_i32_e32 vcc, 16, v19
	v_cndmask_b32_e32 v1, 0, v1, vcc
	v_cndmask_b32_e32 v0, 7, v0, vcc
	v_cmp_ne_u32_e32 vcc, 0, v19
	v_cmp_ne_u64_e64 s[0:1], 0, v[0:1]
	s_or_b64 s[0:1], vcc, s[0:1]
                                        ; implicit-def: $vgpr4
	s_and_saveexec_b64 s[16:17], s[0:1]
	s_xor_b64 s[0:1], exec, s[16:17]
; %bb.348:
	v_min_i32_e32 v1, 15, v19
	v_lshl_or_b32 v1, v1, 3, v17
	v_and_or_b32 v4, v0, 7, v1
                                        ; implicit-def: $vgpr17
; %bb.349:
	s_andn2_saveexec_b64 s[0:1], s[0:1]
; %bb.350:
	v_mov_b32_e32 v4, v17
; %bb.351:
	s_or_b64 exec, exec, s[0:1]
.LBB13_352:
	s_or_b64 exec, exec, s[12:13]
.LBB13_353:
	s_andn2_saveexec_b64 s[0:1], s[10:11]
	s_or_b64 exec, exec, s[0:1]
                                        ; implicit-def: $vgpr19
                                        ; implicit-def: $vgpr0_vgpr1
.LBB13_354:
	s_andn2_saveexec_b64 s[0:1], s[8:9]
; %bb.355:
	s_movk_i32 s8, 0x7f
	v_or_b32_sdwa v17, v19, s8 dst_sel:DWORD dst_unused:UNUSED_PAD src0_sel:BYTE_3 src1_sel:DWORD
	v_cmp_eq_u64_e32 vcc, 0, v[0:1]
	v_cndmask_b32_e32 v4, v17, v4, vcc
; %bb.356:
	s_or_b64 exec, exec, s[0:1]
	v_mul_f32_e32 v0, s14, v5
	v_max_f32_e32 v0, 0xc3e00000, v0
	v_min_f32_e32 v19, 0x43e00000, v0
	v_mov_b32_e32 v1, 0
	s_movk_i32 s0, 0x80
	v_and_b32_sdwa v17, v19, s0 dst_sel:DWORD dst_unused:UNUSED_PAD src0_sel:BYTE_3 src1_sel:DWORD
	v_and_b32_e32 v20, 0x7f800000, v19
	v_mov_b32_e32 v21, v1
	s_mov_b64 s[0:1], 0x7f800000
	v_and_b32_e32 v0, 0x7fffff, v19
	v_or_b32_e32 v5, 0x7e, v17
	v_cmp_ne_u64_e32 vcc, s[0:1], v[20:21]
	s_and_saveexec_b64 s[0:1], vcc
	s_xor_b64 s[8:9], exec, s[0:1]
	s_cbranch_execz .LBB13_370
; %bb.357:
	v_and_b32_e32 v20, 0x7fffffff, v19
	v_mov_b32_e32 v21, v1
	s_mov_b64 s[0:1], 0x43e00001
	v_cmp_gt_u64_e32 vcc, s[0:1], v[20:21]
	s_and_saveexec_b64 s[0:1], vcc
	s_xor_b64 s[10:11], exec, s[0:1]
	s_cbranch_execz .LBB13_369
; %bb.358:
	v_cmp_ne_u32_e32 vcc, 0, v19
	v_mov_b32_e32 v5, 0
	s_and_saveexec_b64 s[12:13], vcc
	s_cbranch_execz .LBB13_368
; %bb.359:
	v_bfe_u32 v5, v19, 23, 8
	s_movk_i32 s0, 0x7a
	v_sub_u32_e32 v20, 0x79, v5
	v_cmp_gt_u32_e32 vcc, s0, v5
	v_add_u32_e32 v19, 0xffffff81, v5
	v_cndmask_b32_e32 v20, 0, v20, vcc
	v_mov_b32_e32 v22, 0xffffff82
	v_cmp_eq_u32_e32 vcc, 0, v5
	v_cndmask_b32_e32 v5, v19, v22, vcc
	v_mov_b32_e32 v19, 0x78
	v_cndmask_b32_e32 v19, v20, v19, vcc
	v_or_b32_e32 v21, 0x800000, v0
	v_add_u32_e32 v20, 20, v19
	v_cndmask_b32_e32 v0, v21, v0, vcc
	v_lshlrev_b64 v[20:21], v20, -1
	v_not_b32_e32 v20, v20
	v_and_b32_e32 v22, v0, v20
	v_add_u32_e32 v20, 19, v19
	v_lshrrev_b64 v[0:1], v19, v[0:1]
	v_not_b32_e32 v21, v21
	v_lshlrev_b64 v[24:25], v20, 1
	v_lshrrev_b32_e32 v20, 23, v0
	v_and_b32_e32 v23, 0, v21
	v_add3_u32 v20, v19, v5, v20
	v_bfe_u32 v19, v0, 20, 1
	v_add_u32_e32 v19, -1, v19
	v_cmp_eq_u64_e32 vcc, v[22:23], v[24:25]
	v_cndmask_b32_e32 v19, 0, v19, vcc
	v_add_u32_e32 v19, v19, v0
	v_and_b32_e32 v19, 0xfffff, v19
	v_add_co_u32_e32 v0, vcc, v19, v0
	v_add_u32_e32 v5, 6, v20
	v_addc_co_u32_e32 v1, vcc, 0, v1, vcc
	v_cmp_ne_u32_e32 vcc, 0, v5
                                        ; implicit-def: $vgpr19
	s_and_saveexec_b64 s[0:1], vcc
	s_xor_b64 s[0:1], exec, s[0:1]
; %bb.360:
	s_mov_b64 s[16:17], 0xffffff
	v_add_u32_e32 v19, 7, v20
	v_cmp_lt_u64_e32 vcc, s[16:17], v[0:1]
	v_cndmask_b32_e32 v19, v5, v19, vcc
	v_cndmask_b32_e64 v5, 0, 1, vcc
	v_lshrrev_b64 v[0:1], v5, v[0:1]
; %bb.361:
	s_andn2_saveexec_b64 s[0:1], s[0:1]
; %bb.362:
	v_bfe_u32 v19, v0, 23, 1
; %bb.363:
	s_or_b64 exec, exec, s[0:1]
	v_lshrrev_b64 v[0:1], 20, v[0:1]
	v_cmp_gt_i32_e32 vcc, 16, v19
	v_cndmask_b32_e32 v1, 0, v1, vcc
	v_cndmask_b32_e32 v0, 7, v0, vcc
	v_cmp_ne_u32_e32 vcc, 0, v19
	v_cmp_ne_u64_e64 s[0:1], 0, v[0:1]
	s_or_b64 s[0:1], vcc, s[0:1]
                                        ; implicit-def: $vgpr5
	s_and_saveexec_b64 s[16:17], s[0:1]
	s_xor_b64 s[0:1], exec, s[16:17]
; %bb.364:
	v_min_i32_e32 v1, 15, v19
	v_lshl_or_b32 v1, v1, 3, v17
	v_and_or_b32 v5, v0, 7, v1
                                        ; implicit-def: $vgpr17
; %bb.365:
	s_andn2_saveexec_b64 s[0:1], s[0:1]
; %bb.366:
	v_mov_b32_e32 v5, v17
; %bb.367:
	s_or_b64 exec, exec, s[0:1]
.LBB13_368:
	s_or_b64 exec, exec, s[12:13]
.LBB13_369:
	s_andn2_saveexec_b64 s[0:1], s[10:11]
	s_or_b64 exec, exec, s[0:1]
                                        ; implicit-def: $vgpr19
                                        ; implicit-def: $vgpr0_vgpr1
.LBB13_370:
	s_andn2_saveexec_b64 s[0:1], s[8:9]
; %bb.371:
	s_movk_i32 s8, 0x7f
	v_or_b32_sdwa v17, v19, s8 dst_sel:DWORD dst_unused:UNUSED_PAD src0_sel:BYTE_3 src1_sel:DWORD
	v_cmp_eq_u64_e32 vcc, 0, v[0:1]
	v_cndmask_b32_e32 v5, v17, v5, vcc
; %bb.372:
	s_or_b64 exec, exec, s[0:1]
	v_mul_f32_e32 v0, s14, v6
	v_max_f32_e32 v0, 0xc3e00000, v0
	v_min_f32_e32 v19, 0x43e00000, v0
	v_mov_b32_e32 v1, 0
	s_movk_i32 s0, 0x80
	v_and_b32_sdwa v17, v19, s0 dst_sel:DWORD dst_unused:UNUSED_PAD src0_sel:BYTE_3 src1_sel:DWORD
	v_and_b32_e32 v20, 0x7f800000, v19
	v_mov_b32_e32 v21, v1
	s_mov_b64 s[0:1], 0x7f800000
	v_and_b32_e32 v0, 0x7fffff, v19
	v_or_b32_e32 v6, 0x7e, v17
	v_cmp_ne_u64_e32 vcc, s[0:1], v[20:21]
	s_and_saveexec_b64 s[0:1], vcc
	s_xor_b64 s[8:9], exec, s[0:1]
	s_cbranch_execz .LBB13_386
; %bb.373:
	v_and_b32_e32 v20, 0x7fffffff, v19
	v_mov_b32_e32 v21, v1
	s_mov_b64 s[0:1], 0x43e00001
	v_cmp_gt_u64_e32 vcc, s[0:1], v[20:21]
	s_and_saveexec_b64 s[0:1], vcc
	s_xor_b64 s[10:11], exec, s[0:1]
	s_cbranch_execz .LBB13_385
; %bb.374:
	v_cmp_ne_u32_e32 vcc, 0, v19
	v_mov_b32_e32 v6, 0
	s_and_saveexec_b64 s[12:13], vcc
	s_cbranch_execz .LBB13_384
; %bb.375:
	v_bfe_u32 v6, v19, 23, 8
	s_movk_i32 s0, 0x7a
	v_sub_u32_e32 v20, 0x79, v6
	v_cmp_gt_u32_e32 vcc, s0, v6
	v_add_u32_e32 v19, 0xffffff81, v6
	v_cndmask_b32_e32 v20, 0, v20, vcc
	v_mov_b32_e32 v22, 0xffffff82
	v_cmp_eq_u32_e32 vcc, 0, v6
	v_cndmask_b32_e32 v6, v19, v22, vcc
	v_mov_b32_e32 v19, 0x78
	v_cndmask_b32_e32 v19, v20, v19, vcc
	v_or_b32_e32 v21, 0x800000, v0
	v_add_u32_e32 v20, 20, v19
	v_cndmask_b32_e32 v0, v21, v0, vcc
	v_lshlrev_b64 v[20:21], v20, -1
	v_not_b32_e32 v20, v20
	v_and_b32_e32 v22, v0, v20
	v_add_u32_e32 v20, 19, v19
	v_lshrrev_b64 v[0:1], v19, v[0:1]
	v_not_b32_e32 v21, v21
	v_lshlrev_b64 v[24:25], v20, 1
	v_lshrrev_b32_e32 v20, 23, v0
	v_and_b32_e32 v23, 0, v21
	v_add3_u32 v20, v19, v6, v20
	v_bfe_u32 v19, v0, 20, 1
	v_add_u32_e32 v19, -1, v19
	v_cmp_eq_u64_e32 vcc, v[22:23], v[24:25]
	v_cndmask_b32_e32 v19, 0, v19, vcc
	v_add_u32_e32 v19, v19, v0
	v_and_b32_e32 v19, 0xfffff, v19
	v_add_co_u32_e32 v0, vcc, v19, v0
	v_add_u32_e32 v6, 6, v20
	v_addc_co_u32_e32 v1, vcc, 0, v1, vcc
	v_cmp_ne_u32_e32 vcc, 0, v6
                                        ; implicit-def: $vgpr19
	s_and_saveexec_b64 s[0:1], vcc
	s_xor_b64 s[0:1], exec, s[0:1]
; %bb.376:
	s_mov_b64 s[16:17], 0xffffff
	v_add_u32_e32 v19, 7, v20
	v_cmp_lt_u64_e32 vcc, s[16:17], v[0:1]
	v_cndmask_b32_e32 v19, v6, v19, vcc
	v_cndmask_b32_e64 v6, 0, 1, vcc
	v_lshrrev_b64 v[0:1], v6, v[0:1]
; %bb.377:
	s_andn2_saveexec_b64 s[0:1], s[0:1]
; %bb.378:
	v_bfe_u32 v19, v0, 23, 1
; %bb.379:
	s_or_b64 exec, exec, s[0:1]
	v_lshrrev_b64 v[0:1], 20, v[0:1]
	v_cmp_gt_i32_e32 vcc, 16, v19
	v_cndmask_b32_e32 v1, 0, v1, vcc
	v_cndmask_b32_e32 v0, 7, v0, vcc
	v_cmp_ne_u32_e32 vcc, 0, v19
	v_cmp_ne_u64_e64 s[0:1], 0, v[0:1]
	s_or_b64 s[0:1], vcc, s[0:1]
                                        ; implicit-def: $vgpr6
	s_and_saveexec_b64 s[16:17], s[0:1]
	s_xor_b64 s[0:1], exec, s[16:17]
; %bb.380:
	v_min_i32_e32 v1, 15, v19
	v_lshl_or_b32 v1, v1, 3, v17
	v_and_or_b32 v6, v0, 7, v1
                                        ; implicit-def: $vgpr17
; %bb.381:
	s_andn2_saveexec_b64 s[0:1], s[0:1]
; %bb.382:
	v_mov_b32_e32 v6, v17
; %bb.383:
	s_or_b64 exec, exec, s[0:1]
.LBB13_384:
	s_or_b64 exec, exec, s[12:13]
.LBB13_385:
	s_andn2_saveexec_b64 s[0:1], s[10:11]
	s_or_b64 exec, exec, s[0:1]
                                        ; implicit-def: $vgpr19
                                        ; implicit-def: $vgpr0_vgpr1
.LBB13_386:
	s_andn2_saveexec_b64 s[0:1], s[8:9]
; %bb.387:
	s_movk_i32 s8, 0x7f
	v_or_b32_sdwa v17, v19, s8 dst_sel:DWORD dst_unused:UNUSED_PAD src0_sel:BYTE_3 src1_sel:DWORD
	v_cmp_eq_u64_e32 vcc, 0, v[0:1]
	v_cndmask_b32_e32 v6, v17, v6, vcc
; %bb.388:
	s_or_b64 exec, exec, s[0:1]
	v_mul_f32_e32 v0, s14, v7
	v_max_f32_e32 v0, 0xc3e00000, v0
	v_min_f32_e32 v19, 0x43e00000, v0
	v_mov_b32_e32 v1, 0
	s_movk_i32 s0, 0x80
	v_and_b32_sdwa v17, v19, s0 dst_sel:DWORD dst_unused:UNUSED_PAD src0_sel:BYTE_3 src1_sel:DWORD
	v_and_b32_e32 v20, 0x7f800000, v19
	v_mov_b32_e32 v21, v1
	s_mov_b64 s[0:1], 0x7f800000
	v_and_b32_e32 v0, 0x7fffff, v19
	v_or_b32_e32 v7, 0x7e, v17
	v_cmp_ne_u64_e32 vcc, s[0:1], v[20:21]
	s_and_saveexec_b64 s[0:1], vcc
	s_xor_b64 s[8:9], exec, s[0:1]
	s_cbranch_execz .LBB13_402
; %bb.389:
	v_and_b32_e32 v20, 0x7fffffff, v19
	v_mov_b32_e32 v21, v1
	s_mov_b64 s[0:1], 0x43e00001
	v_cmp_gt_u64_e32 vcc, s[0:1], v[20:21]
	s_and_saveexec_b64 s[0:1], vcc
	s_xor_b64 s[10:11], exec, s[0:1]
	s_cbranch_execz .LBB13_401
; %bb.390:
	v_cmp_ne_u32_e32 vcc, 0, v19
	v_mov_b32_e32 v7, 0
	s_and_saveexec_b64 s[12:13], vcc
	s_cbranch_execz .LBB13_400
; %bb.391:
	v_bfe_u32 v7, v19, 23, 8
	s_movk_i32 s0, 0x7a
	v_sub_u32_e32 v20, 0x79, v7
	v_cmp_gt_u32_e32 vcc, s0, v7
	v_add_u32_e32 v19, 0xffffff81, v7
	v_cndmask_b32_e32 v20, 0, v20, vcc
	v_mov_b32_e32 v22, 0xffffff82
	v_cmp_eq_u32_e32 vcc, 0, v7
	v_cndmask_b32_e32 v7, v19, v22, vcc
	v_mov_b32_e32 v19, 0x78
	v_cndmask_b32_e32 v19, v20, v19, vcc
	v_or_b32_e32 v21, 0x800000, v0
	v_add_u32_e32 v20, 20, v19
	v_cndmask_b32_e32 v0, v21, v0, vcc
	v_lshlrev_b64 v[20:21], v20, -1
	v_not_b32_e32 v20, v20
	v_and_b32_e32 v22, v0, v20
	v_add_u32_e32 v20, 19, v19
	v_lshrrev_b64 v[0:1], v19, v[0:1]
	v_not_b32_e32 v21, v21
	v_lshlrev_b64 v[24:25], v20, 1
	v_lshrrev_b32_e32 v20, 23, v0
	v_and_b32_e32 v23, 0, v21
	v_add3_u32 v20, v19, v7, v20
	v_bfe_u32 v19, v0, 20, 1
	v_add_u32_e32 v19, -1, v19
	v_cmp_eq_u64_e32 vcc, v[22:23], v[24:25]
	v_cndmask_b32_e32 v19, 0, v19, vcc
	v_add_u32_e32 v19, v19, v0
	v_and_b32_e32 v19, 0xfffff, v19
	v_add_co_u32_e32 v0, vcc, v19, v0
	v_add_u32_e32 v7, 6, v20
	v_addc_co_u32_e32 v1, vcc, 0, v1, vcc
	v_cmp_ne_u32_e32 vcc, 0, v7
                                        ; implicit-def: $vgpr19
	s_and_saveexec_b64 s[0:1], vcc
	s_xor_b64 s[0:1], exec, s[0:1]
; %bb.392:
	s_mov_b64 s[16:17], 0xffffff
	v_add_u32_e32 v19, 7, v20
	v_cmp_lt_u64_e32 vcc, s[16:17], v[0:1]
	v_cndmask_b32_e32 v19, v7, v19, vcc
	v_cndmask_b32_e64 v7, 0, 1, vcc
	v_lshrrev_b64 v[0:1], v7, v[0:1]
; %bb.393:
	s_andn2_saveexec_b64 s[0:1], s[0:1]
; %bb.394:
	v_bfe_u32 v19, v0, 23, 1
; %bb.395:
	s_or_b64 exec, exec, s[0:1]
	v_lshrrev_b64 v[0:1], 20, v[0:1]
	v_cmp_gt_i32_e32 vcc, 16, v19
	v_cndmask_b32_e32 v1, 0, v1, vcc
	v_cndmask_b32_e32 v0, 7, v0, vcc
	v_cmp_ne_u32_e32 vcc, 0, v19
	v_cmp_ne_u64_e64 s[0:1], 0, v[0:1]
	s_or_b64 s[0:1], vcc, s[0:1]
                                        ; implicit-def: $vgpr7
	s_and_saveexec_b64 s[16:17], s[0:1]
	s_xor_b64 s[0:1], exec, s[16:17]
; %bb.396:
	v_min_i32_e32 v1, 15, v19
	v_lshl_or_b32 v1, v1, 3, v17
	v_and_or_b32 v7, v0, 7, v1
                                        ; implicit-def: $vgpr17
; %bb.397:
	s_andn2_saveexec_b64 s[0:1], s[0:1]
; %bb.398:
	v_mov_b32_e32 v7, v17
; %bb.399:
	s_or_b64 exec, exec, s[0:1]
.LBB13_400:
	s_or_b64 exec, exec, s[12:13]
.LBB13_401:
	s_andn2_saveexec_b64 s[0:1], s[10:11]
	s_or_b64 exec, exec, s[0:1]
                                        ; implicit-def: $vgpr19
                                        ; implicit-def: $vgpr0_vgpr1
.LBB13_402:
	s_andn2_saveexec_b64 s[0:1], s[8:9]
; %bb.403:
	s_movk_i32 s8, 0x7f
	v_or_b32_sdwa v17, v19, s8 dst_sel:DWORD dst_unused:UNUSED_PAD src0_sel:BYTE_3 src1_sel:DWORD
	v_cmp_eq_u64_e32 vcc, 0, v[0:1]
	v_cndmask_b32_e32 v7, v17, v7, vcc
; %bb.404:
	s_or_b64 exec, exec, s[0:1]
	v_mul_f32_e32 v0, s14, v8
	v_max_f32_e32 v0, 0xc3e00000, v0
	v_min_f32_e32 v19, 0x43e00000, v0
	v_mov_b32_e32 v1, 0
	s_movk_i32 s0, 0x80
	v_and_b32_sdwa v17, v19, s0 dst_sel:DWORD dst_unused:UNUSED_PAD src0_sel:BYTE_3 src1_sel:DWORD
	v_and_b32_e32 v20, 0x7f800000, v19
	v_mov_b32_e32 v21, v1
	s_mov_b64 s[0:1], 0x7f800000
	v_and_b32_e32 v0, 0x7fffff, v19
	v_or_b32_e32 v8, 0x7e, v17
	v_cmp_ne_u64_e32 vcc, s[0:1], v[20:21]
	s_and_saveexec_b64 s[0:1], vcc
	s_xor_b64 s[8:9], exec, s[0:1]
	s_cbranch_execz .LBB13_418
; %bb.405:
	v_and_b32_e32 v20, 0x7fffffff, v19
	v_mov_b32_e32 v21, v1
	s_mov_b64 s[0:1], 0x43e00001
	v_cmp_gt_u64_e32 vcc, s[0:1], v[20:21]
	s_and_saveexec_b64 s[0:1], vcc
	s_xor_b64 s[10:11], exec, s[0:1]
	s_cbranch_execz .LBB13_417
; %bb.406:
	v_cmp_ne_u32_e32 vcc, 0, v19
	v_mov_b32_e32 v8, 0
	s_and_saveexec_b64 s[12:13], vcc
	s_cbranch_execz .LBB13_416
; %bb.407:
	v_bfe_u32 v8, v19, 23, 8
	s_movk_i32 s0, 0x7a
	v_sub_u32_e32 v20, 0x79, v8
	v_cmp_gt_u32_e32 vcc, s0, v8
	v_add_u32_e32 v19, 0xffffff81, v8
	v_cndmask_b32_e32 v20, 0, v20, vcc
	v_mov_b32_e32 v22, 0xffffff82
	v_cmp_eq_u32_e32 vcc, 0, v8
	v_cndmask_b32_e32 v8, v19, v22, vcc
	v_mov_b32_e32 v19, 0x78
	v_cndmask_b32_e32 v19, v20, v19, vcc
	v_or_b32_e32 v21, 0x800000, v0
	v_add_u32_e32 v20, 20, v19
	v_cndmask_b32_e32 v0, v21, v0, vcc
	v_lshlrev_b64 v[20:21], v20, -1
	v_not_b32_e32 v20, v20
	v_and_b32_e32 v22, v0, v20
	v_add_u32_e32 v20, 19, v19
	v_lshrrev_b64 v[0:1], v19, v[0:1]
	v_not_b32_e32 v21, v21
	v_lshlrev_b64 v[24:25], v20, 1
	v_lshrrev_b32_e32 v20, 23, v0
	v_and_b32_e32 v23, 0, v21
	v_add3_u32 v20, v19, v8, v20
	v_bfe_u32 v19, v0, 20, 1
	v_add_u32_e32 v19, -1, v19
	v_cmp_eq_u64_e32 vcc, v[22:23], v[24:25]
	v_cndmask_b32_e32 v19, 0, v19, vcc
	v_add_u32_e32 v19, v19, v0
	v_and_b32_e32 v19, 0xfffff, v19
	v_add_co_u32_e32 v0, vcc, v19, v0
	v_add_u32_e32 v8, 6, v20
	v_addc_co_u32_e32 v1, vcc, 0, v1, vcc
	v_cmp_ne_u32_e32 vcc, 0, v8
                                        ; implicit-def: $vgpr19
	s_and_saveexec_b64 s[0:1], vcc
	s_xor_b64 s[0:1], exec, s[0:1]
; %bb.408:
	s_mov_b64 s[16:17], 0xffffff
	v_add_u32_e32 v19, 7, v20
	v_cmp_lt_u64_e32 vcc, s[16:17], v[0:1]
	v_cndmask_b32_e32 v19, v8, v19, vcc
	v_cndmask_b32_e64 v8, 0, 1, vcc
	v_lshrrev_b64 v[0:1], v8, v[0:1]
; %bb.409:
	s_andn2_saveexec_b64 s[0:1], s[0:1]
; %bb.410:
	v_bfe_u32 v19, v0, 23, 1
; %bb.411:
	s_or_b64 exec, exec, s[0:1]
	v_lshrrev_b64 v[0:1], 20, v[0:1]
	v_cmp_gt_i32_e32 vcc, 16, v19
	v_cndmask_b32_e32 v1, 0, v1, vcc
	v_cndmask_b32_e32 v0, 7, v0, vcc
	v_cmp_ne_u32_e32 vcc, 0, v19
	v_cmp_ne_u64_e64 s[0:1], 0, v[0:1]
	s_or_b64 s[0:1], vcc, s[0:1]
                                        ; implicit-def: $vgpr8
	s_and_saveexec_b64 s[16:17], s[0:1]
	s_xor_b64 s[0:1], exec, s[16:17]
; %bb.412:
	v_min_i32_e32 v1, 15, v19
	v_lshl_or_b32 v1, v1, 3, v17
	v_and_or_b32 v8, v0, 7, v1
                                        ; implicit-def: $vgpr17
; %bb.413:
	s_andn2_saveexec_b64 s[0:1], s[0:1]
; %bb.414:
	v_mov_b32_e32 v8, v17
; %bb.415:
	s_or_b64 exec, exec, s[0:1]
.LBB13_416:
	s_or_b64 exec, exec, s[12:13]
.LBB13_417:
	s_andn2_saveexec_b64 s[0:1], s[10:11]
	s_or_b64 exec, exec, s[0:1]
                                        ; implicit-def: $vgpr19
                                        ; implicit-def: $vgpr0_vgpr1
.LBB13_418:
	s_andn2_saveexec_b64 s[0:1], s[8:9]
; %bb.419:
	s_movk_i32 s8, 0x7f
	v_or_b32_sdwa v17, v19, s8 dst_sel:DWORD dst_unused:UNUSED_PAD src0_sel:BYTE_3 src1_sel:DWORD
	v_cmp_eq_u64_e32 vcc, 0, v[0:1]
	v_cndmask_b32_e32 v8, v17, v8, vcc
; %bb.420:
	s_or_b64 exec, exec, s[0:1]
	v_mul_f32_e32 v0, s14, v9
	v_max_f32_e32 v0, 0xc3e00000, v0
	v_min_f32_e32 v19, 0x43e00000, v0
	v_mov_b32_e32 v1, 0
	s_movk_i32 s0, 0x80
	v_and_b32_sdwa v17, v19, s0 dst_sel:DWORD dst_unused:UNUSED_PAD src0_sel:BYTE_3 src1_sel:DWORD
	v_and_b32_e32 v20, 0x7f800000, v19
	v_mov_b32_e32 v21, v1
	s_mov_b64 s[0:1], 0x7f800000
	v_and_b32_e32 v0, 0x7fffff, v19
	v_or_b32_e32 v9, 0x7e, v17
	v_cmp_ne_u64_e32 vcc, s[0:1], v[20:21]
	s_and_saveexec_b64 s[0:1], vcc
	s_xor_b64 s[8:9], exec, s[0:1]
	s_cbranch_execz .LBB13_434
; %bb.421:
	v_and_b32_e32 v20, 0x7fffffff, v19
	v_mov_b32_e32 v21, v1
	s_mov_b64 s[0:1], 0x43e00001
	v_cmp_gt_u64_e32 vcc, s[0:1], v[20:21]
	s_and_saveexec_b64 s[0:1], vcc
	s_xor_b64 s[10:11], exec, s[0:1]
	s_cbranch_execz .LBB13_433
; %bb.422:
	v_cmp_ne_u32_e32 vcc, 0, v19
	v_mov_b32_e32 v9, 0
	s_and_saveexec_b64 s[12:13], vcc
	s_cbranch_execz .LBB13_432
; %bb.423:
	v_bfe_u32 v9, v19, 23, 8
	s_movk_i32 s0, 0x7a
	v_sub_u32_e32 v20, 0x79, v9
	v_cmp_gt_u32_e32 vcc, s0, v9
	v_add_u32_e32 v19, 0xffffff81, v9
	v_cndmask_b32_e32 v20, 0, v20, vcc
	v_mov_b32_e32 v22, 0xffffff82
	v_cmp_eq_u32_e32 vcc, 0, v9
	v_cndmask_b32_e32 v9, v19, v22, vcc
	v_mov_b32_e32 v19, 0x78
	v_cndmask_b32_e32 v19, v20, v19, vcc
	v_or_b32_e32 v21, 0x800000, v0
	v_add_u32_e32 v20, 20, v19
	v_cndmask_b32_e32 v0, v21, v0, vcc
	v_lshlrev_b64 v[20:21], v20, -1
	v_not_b32_e32 v20, v20
	v_and_b32_e32 v22, v0, v20
	v_add_u32_e32 v20, 19, v19
	v_lshrrev_b64 v[0:1], v19, v[0:1]
	v_not_b32_e32 v21, v21
	v_lshlrev_b64 v[24:25], v20, 1
	v_lshrrev_b32_e32 v20, 23, v0
	v_and_b32_e32 v23, 0, v21
	v_add3_u32 v20, v19, v9, v20
	v_bfe_u32 v19, v0, 20, 1
	v_add_u32_e32 v19, -1, v19
	v_cmp_eq_u64_e32 vcc, v[22:23], v[24:25]
	v_cndmask_b32_e32 v19, 0, v19, vcc
	v_add_u32_e32 v19, v19, v0
	v_and_b32_e32 v19, 0xfffff, v19
	v_add_co_u32_e32 v0, vcc, v19, v0
	v_add_u32_e32 v9, 6, v20
	v_addc_co_u32_e32 v1, vcc, 0, v1, vcc
	v_cmp_ne_u32_e32 vcc, 0, v9
                                        ; implicit-def: $vgpr19
	s_and_saveexec_b64 s[0:1], vcc
	s_xor_b64 s[0:1], exec, s[0:1]
; %bb.424:
	s_mov_b64 s[16:17], 0xffffff
	v_add_u32_e32 v19, 7, v20
	v_cmp_lt_u64_e32 vcc, s[16:17], v[0:1]
	v_cndmask_b32_e32 v19, v9, v19, vcc
	v_cndmask_b32_e64 v9, 0, 1, vcc
	v_lshrrev_b64 v[0:1], v9, v[0:1]
; %bb.425:
	s_andn2_saveexec_b64 s[0:1], s[0:1]
; %bb.426:
	v_bfe_u32 v19, v0, 23, 1
; %bb.427:
	s_or_b64 exec, exec, s[0:1]
	v_lshrrev_b64 v[0:1], 20, v[0:1]
	v_cmp_gt_i32_e32 vcc, 16, v19
	v_cndmask_b32_e32 v1, 0, v1, vcc
	v_cndmask_b32_e32 v0, 7, v0, vcc
	v_cmp_ne_u32_e32 vcc, 0, v19
	v_cmp_ne_u64_e64 s[0:1], 0, v[0:1]
	s_or_b64 s[0:1], vcc, s[0:1]
                                        ; implicit-def: $vgpr9
	s_and_saveexec_b64 s[16:17], s[0:1]
	s_xor_b64 s[0:1], exec, s[16:17]
; %bb.428:
	v_min_i32_e32 v1, 15, v19
	v_lshl_or_b32 v1, v1, 3, v17
	v_and_or_b32 v9, v0, 7, v1
                                        ; implicit-def: $vgpr17
; %bb.429:
	s_andn2_saveexec_b64 s[0:1], s[0:1]
; %bb.430:
	v_mov_b32_e32 v9, v17
; %bb.431:
	s_or_b64 exec, exec, s[0:1]
.LBB13_432:
	s_or_b64 exec, exec, s[12:13]
.LBB13_433:
	s_andn2_saveexec_b64 s[0:1], s[10:11]
	s_or_b64 exec, exec, s[0:1]
                                        ; implicit-def: $vgpr19
                                        ; implicit-def: $vgpr0_vgpr1
.LBB13_434:
	s_andn2_saveexec_b64 s[0:1], s[8:9]
; %bb.435:
	s_movk_i32 s8, 0x7f
	v_or_b32_sdwa v17, v19, s8 dst_sel:DWORD dst_unused:UNUSED_PAD src0_sel:BYTE_3 src1_sel:DWORD
	v_cmp_eq_u64_e32 vcc, 0, v[0:1]
	v_cndmask_b32_e32 v9, v17, v9, vcc
; %bb.436:
	s_or_b64 exec, exec, s[0:1]
	v_mul_f32_e32 v0, s14, v10
	v_max_f32_e32 v0, 0xc3e00000, v0
	v_min_f32_e32 v19, 0x43e00000, v0
	v_mov_b32_e32 v1, 0
	s_movk_i32 s0, 0x80
	v_and_b32_sdwa v17, v19, s0 dst_sel:DWORD dst_unused:UNUSED_PAD src0_sel:BYTE_3 src1_sel:DWORD
	v_and_b32_e32 v20, 0x7f800000, v19
	v_mov_b32_e32 v21, v1
	s_mov_b64 s[0:1], 0x7f800000
	v_and_b32_e32 v0, 0x7fffff, v19
	v_or_b32_e32 v10, 0x7e, v17
	v_cmp_ne_u64_e32 vcc, s[0:1], v[20:21]
	s_and_saveexec_b64 s[0:1], vcc
	s_xor_b64 s[8:9], exec, s[0:1]
	s_cbranch_execz .LBB13_450
; %bb.437:
	v_and_b32_e32 v20, 0x7fffffff, v19
	v_mov_b32_e32 v21, v1
	s_mov_b64 s[0:1], 0x43e00001
	v_cmp_gt_u64_e32 vcc, s[0:1], v[20:21]
	s_and_saveexec_b64 s[0:1], vcc
	s_xor_b64 s[10:11], exec, s[0:1]
	s_cbranch_execz .LBB13_449
; %bb.438:
	v_cmp_ne_u32_e32 vcc, 0, v19
	v_mov_b32_e32 v10, 0
	s_and_saveexec_b64 s[12:13], vcc
	s_cbranch_execz .LBB13_448
; %bb.439:
	v_bfe_u32 v10, v19, 23, 8
	s_movk_i32 s0, 0x7a
	v_sub_u32_e32 v20, 0x79, v10
	v_cmp_gt_u32_e32 vcc, s0, v10
	v_add_u32_e32 v19, 0xffffff81, v10
	v_cndmask_b32_e32 v20, 0, v20, vcc
	v_mov_b32_e32 v22, 0xffffff82
	v_cmp_eq_u32_e32 vcc, 0, v10
	v_cndmask_b32_e32 v10, v19, v22, vcc
	v_mov_b32_e32 v19, 0x78
	v_cndmask_b32_e32 v19, v20, v19, vcc
	v_or_b32_e32 v21, 0x800000, v0
	v_add_u32_e32 v20, 20, v19
	v_cndmask_b32_e32 v0, v21, v0, vcc
	v_lshlrev_b64 v[20:21], v20, -1
	v_not_b32_e32 v20, v20
	v_and_b32_e32 v22, v0, v20
	v_add_u32_e32 v20, 19, v19
	v_lshrrev_b64 v[0:1], v19, v[0:1]
	v_not_b32_e32 v21, v21
	v_lshlrev_b64 v[24:25], v20, 1
	v_lshrrev_b32_e32 v20, 23, v0
	v_and_b32_e32 v23, 0, v21
	v_add3_u32 v20, v19, v10, v20
	v_bfe_u32 v19, v0, 20, 1
	v_add_u32_e32 v19, -1, v19
	v_cmp_eq_u64_e32 vcc, v[22:23], v[24:25]
	v_cndmask_b32_e32 v19, 0, v19, vcc
	v_add_u32_e32 v19, v19, v0
	v_and_b32_e32 v19, 0xfffff, v19
	v_add_co_u32_e32 v0, vcc, v19, v0
	v_add_u32_e32 v10, 6, v20
	v_addc_co_u32_e32 v1, vcc, 0, v1, vcc
	v_cmp_ne_u32_e32 vcc, 0, v10
                                        ; implicit-def: $vgpr19
	s_and_saveexec_b64 s[0:1], vcc
	s_xor_b64 s[0:1], exec, s[0:1]
; %bb.440:
	s_mov_b64 s[16:17], 0xffffff
	v_add_u32_e32 v19, 7, v20
	v_cmp_lt_u64_e32 vcc, s[16:17], v[0:1]
	v_cndmask_b32_e32 v19, v10, v19, vcc
	v_cndmask_b32_e64 v10, 0, 1, vcc
	v_lshrrev_b64 v[0:1], v10, v[0:1]
; %bb.441:
	s_andn2_saveexec_b64 s[0:1], s[0:1]
; %bb.442:
	v_bfe_u32 v19, v0, 23, 1
; %bb.443:
	s_or_b64 exec, exec, s[0:1]
	v_lshrrev_b64 v[0:1], 20, v[0:1]
	v_cmp_gt_i32_e32 vcc, 16, v19
	v_cndmask_b32_e32 v1, 0, v1, vcc
	v_cndmask_b32_e32 v0, 7, v0, vcc
	v_cmp_ne_u32_e32 vcc, 0, v19
	v_cmp_ne_u64_e64 s[0:1], 0, v[0:1]
	s_or_b64 s[0:1], vcc, s[0:1]
                                        ; implicit-def: $vgpr10
	s_and_saveexec_b64 s[16:17], s[0:1]
	s_xor_b64 s[0:1], exec, s[16:17]
; %bb.444:
	v_min_i32_e32 v1, 15, v19
	v_lshl_or_b32 v1, v1, 3, v17
	v_and_or_b32 v10, v0, 7, v1
                                        ; implicit-def: $vgpr17
; %bb.445:
	s_andn2_saveexec_b64 s[0:1], s[0:1]
; %bb.446:
	v_mov_b32_e32 v10, v17
; %bb.447:
	s_or_b64 exec, exec, s[0:1]
.LBB13_448:
	s_or_b64 exec, exec, s[12:13]
.LBB13_449:
	s_andn2_saveexec_b64 s[0:1], s[10:11]
	s_or_b64 exec, exec, s[0:1]
                                        ; implicit-def: $vgpr19
                                        ; implicit-def: $vgpr0_vgpr1
.LBB13_450:
	s_andn2_saveexec_b64 s[0:1], s[8:9]
; %bb.451:
	s_movk_i32 s8, 0x7f
	v_or_b32_sdwa v17, v19, s8 dst_sel:DWORD dst_unused:UNUSED_PAD src0_sel:BYTE_3 src1_sel:DWORD
	v_cmp_eq_u64_e32 vcc, 0, v[0:1]
	v_cndmask_b32_e32 v10, v17, v10, vcc
; %bb.452:
	s_or_b64 exec, exec, s[0:1]
	v_mul_f32_e32 v0, s14, v11
	v_max_f32_e32 v0, 0xc3e00000, v0
	v_min_f32_e32 v19, 0x43e00000, v0
	v_mov_b32_e32 v1, 0
	s_movk_i32 s0, 0x80
	v_and_b32_sdwa v17, v19, s0 dst_sel:DWORD dst_unused:UNUSED_PAD src0_sel:BYTE_3 src1_sel:DWORD
	v_and_b32_e32 v20, 0x7f800000, v19
	v_mov_b32_e32 v21, v1
	s_mov_b64 s[0:1], 0x7f800000
	v_and_b32_e32 v0, 0x7fffff, v19
	v_or_b32_e32 v11, 0x7e, v17
	v_cmp_ne_u64_e32 vcc, s[0:1], v[20:21]
	s_and_saveexec_b64 s[0:1], vcc
	s_xor_b64 s[8:9], exec, s[0:1]
	s_cbranch_execz .LBB13_466
; %bb.453:
	v_and_b32_e32 v20, 0x7fffffff, v19
	v_mov_b32_e32 v21, v1
	s_mov_b64 s[0:1], 0x43e00001
	v_cmp_gt_u64_e32 vcc, s[0:1], v[20:21]
	s_and_saveexec_b64 s[0:1], vcc
	s_xor_b64 s[10:11], exec, s[0:1]
	s_cbranch_execz .LBB13_465
; %bb.454:
	v_cmp_ne_u32_e32 vcc, 0, v19
	v_mov_b32_e32 v11, 0
	s_and_saveexec_b64 s[12:13], vcc
	s_cbranch_execz .LBB13_464
; %bb.455:
	v_bfe_u32 v11, v19, 23, 8
	s_movk_i32 s0, 0x7a
	v_sub_u32_e32 v20, 0x79, v11
	v_cmp_gt_u32_e32 vcc, s0, v11
	v_add_u32_e32 v19, 0xffffff81, v11
	v_cndmask_b32_e32 v20, 0, v20, vcc
	v_mov_b32_e32 v22, 0xffffff82
	v_cmp_eq_u32_e32 vcc, 0, v11
	v_cndmask_b32_e32 v11, v19, v22, vcc
	v_mov_b32_e32 v19, 0x78
	v_cndmask_b32_e32 v19, v20, v19, vcc
	v_or_b32_e32 v21, 0x800000, v0
	v_add_u32_e32 v20, 20, v19
	v_cndmask_b32_e32 v0, v21, v0, vcc
	v_lshlrev_b64 v[20:21], v20, -1
	v_not_b32_e32 v20, v20
	v_and_b32_e32 v22, v0, v20
	v_add_u32_e32 v20, 19, v19
	v_lshrrev_b64 v[0:1], v19, v[0:1]
	v_not_b32_e32 v21, v21
	v_lshlrev_b64 v[24:25], v20, 1
	v_lshrrev_b32_e32 v20, 23, v0
	v_and_b32_e32 v23, 0, v21
	v_add3_u32 v20, v19, v11, v20
	v_bfe_u32 v19, v0, 20, 1
	v_add_u32_e32 v19, -1, v19
	v_cmp_eq_u64_e32 vcc, v[22:23], v[24:25]
	v_cndmask_b32_e32 v19, 0, v19, vcc
	v_add_u32_e32 v19, v19, v0
	v_and_b32_e32 v19, 0xfffff, v19
	v_add_co_u32_e32 v0, vcc, v19, v0
	v_add_u32_e32 v11, 6, v20
	v_addc_co_u32_e32 v1, vcc, 0, v1, vcc
	v_cmp_ne_u32_e32 vcc, 0, v11
                                        ; implicit-def: $vgpr19
	s_and_saveexec_b64 s[0:1], vcc
	s_xor_b64 s[0:1], exec, s[0:1]
; %bb.456:
	s_mov_b64 s[16:17], 0xffffff
	v_add_u32_e32 v19, 7, v20
	v_cmp_lt_u64_e32 vcc, s[16:17], v[0:1]
	v_cndmask_b32_e32 v19, v11, v19, vcc
	v_cndmask_b32_e64 v11, 0, 1, vcc
	v_lshrrev_b64 v[0:1], v11, v[0:1]
; %bb.457:
	s_andn2_saveexec_b64 s[0:1], s[0:1]
; %bb.458:
	v_bfe_u32 v19, v0, 23, 1
; %bb.459:
	s_or_b64 exec, exec, s[0:1]
	v_lshrrev_b64 v[0:1], 20, v[0:1]
	v_cmp_gt_i32_e32 vcc, 16, v19
	v_cndmask_b32_e32 v1, 0, v1, vcc
	v_cndmask_b32_e32 v0, 7, v0, vcc
	v_cmp_ne_u32_e32 vcc, 0, v19
	v_cmp_ne_u64_e64 s[0:1], 0, v[0:1]
	s_or_b64 s[0:1], vcc, s[0:1]
                                        ; implicit-def: $vgpr11
	s_and_saveexec_b64 s[16:17], s[0:1]
	s_xor_b64 s[0:1], exec, s[16:17]
; %bb.460:
	v_min_i32_e32 v1, 15, v19
	v_lshl_or_b32 v1, v1, 3, v17
	v_and_or_b32 v11, v0, 7, v1
                                        ; implicit-def: $vgpr17
; %bb.461:
	s_andn2_saveexec_b64 s[0:1], s[0:1]
; %bb.462:
	v_mov_b32_e32 v11, v17
; %bb.463:
	s_or_b64 exec, exec, s[0:1]
.LBB13_464:
	s_or_b64 exec, exec, s[12:13]
.LBB13_465:
	s_andn2_saveexec_b64 s[0:1], s[10:11]
	s_or_b64 exec, exec, s[0:1]
                                        ; implicit-def: $vgpr19
                                        ; implicit-def: $vgpr0_vgpr1
.LBB13_466:
	s_andn2_saveexec_b64 s[0:1], s[8:9]
; %bb.467:
	s_movk_i32 s8, 0x7f
	v_or_b32_sdwa v17, v19, s8 dst_sel:DWORD dst_unused:UNUSED_PAD src0_sel:BYTE_3 src1_sel:DWORD
	v_cmp_eq_u64_e32 vcc, 0, v[0:1]
	v_cndmask_b32_e32 v11, v17, v11, vcc
; %bb.468:
	s_or_b64 exec, exec, s[0:1]
	v_mul_f32_e32 v0, s14, v12
	v_max_f32_e32 v0, 0xc3e00000, v0
	v_min_f32_e32 v19, 0x43e00000, v0
	v_mov_b32_e32 v1, 0
	s_movk_i32 s0, 0x80
	v_and_b32_sdwa v17, v19, s0 dst_sel:DWORD dst_unused:UNUSED_PAD src0_sel:BYTE_3 src1_sel:DWORD
	v_and_b32_e32 v20, 0x7f800000, v19
	v_mov_b32_e32 v21, v1
	s_mov_b64 s[0:1], 0x7f800000
	v_and_b32_e32 v0, 0x7fffff, v19
	v_or_b32_e32 v12, 0x7e, v17
	v_cmp_ne_u64_e32 vcc, s[0:1], v[20:21]
	s_and_saveexec_b64 s[0:1], vcc
	s_xor_b64 s[8:9], exec, s[0:1]
	s_cbranch_execz .LBB13_482
; %bb.469:
	v_and_b32_e32 v20, 0x7fffffff, v19
	v_mov_b32_e32 v21, v1
	s_mov_b64 s[0:1], 0x43e00001
	v_cmp_gt_u64_e32 vcc, s[0:1], v[20:21]
	s_and_saveexec_b64 s[0:1], vcc
	s_xor_b64 s[10:11], exec, s[0:1]
	s_cbranch_execz .LBB13_481
; %bb.470:
	v_cmp_ne_u32_e32 vcc, 0, v19
	v_mov_b32_e32 v12, 0
	s_and_saveexec_b64 s[12:13], vcc
	s_cbranch_execz .LBB13_480
; %bb.471:
	v_bfe_u32 v12, v19, 23, 8
	s_movk_i32 s0, 0x7a
	v_sub_u32_e32 v20, 0x79, v12
	v_cmp_gt_u32_e32 vcc, s0, v12
	v_add_u32_e32 v19, 0xffffff81, v12
	v_cndmask_b32_e32 v20, 0, v20, vcc
	v_mov_b32_e32 v22, 0xffffff82
	v_cmp_eq_u32_e32 vcc, 0, v12
	v_cndmask_b32_e32 v12, v19, v22, vcc
	v_mov_b32_e32 v19, 0x78
	v_cndmask_b32_e32 v19, v20, v19, vcc
	v_or_b32_e32 v21, 0x800000, v0
	v_add_u32_e32 v20, 20, v19
	v_cndmask_b32_e32 v0, v21, v0, vcc
	v_lshlrev_b64 v[20:21], v20, -1
	v_not_b32_e32 v20, v20
	v_and_b32_e32 v22, v0, v20
	v_add_u32_e32 v20, 19, v19
	v_lshrrev_b64 v[0:1], v19, v[0:1]
	v_not_b32_e32 v21, v21
	v_lshlrev_b64 v[24:25], v20, 1
	v_lshrrev_b32_e32 v20, 23, v0
	v_and_b32_e32 v23, 0, v21
	v_add3_u32 v20, v19, v12, v20
	v_bfe_u32 v19, v0, 20, 1
	v_add_u32_e32 v19, -1, v19
	v_cmp_eq_u64_e32 vcc, v[22:23], v[24:25]
	v_cndmask_b32_e32 v19, 0, v19, vcc
	v_add_u32_e32 v19, v19, v0
	v_and_b32_e32 v19, 0xfffff, v19
	v_add_co_u32_e32 v0, vcc, v19, v0
	v_add_u32_e32 v12, 6, v20
	v_addc_co_u32_e32 v1, vcc, 0, v1, vcc
	v_cmp_ne_u32_e32 vcc, 0, v12
                                        ; implicit-def: $vgpr19
	s_and_saveexec_b64 s[0:1], vcc
	s_xor_b64 s[0:1], exec, s[0:1]
; %bb.472:
	s_mov_b64 s[16:17], 0xffffff
	v_add_u32_e32 v19, 7, v20
	v_cmp_lt_u64_e32 vcc, s[16:17], v[0:1]
	v_cndmask_b32_e32 v19, v12, v19, vcc
	v_cndmask_b32_e64 v12, 0, 1, vcc
	v_lshrrev_b64 v[0:1], v12, v[0:1]
; %bb.473:
	s_andn2_saveexec_b64 s[0:1], s[0:1]
; %bb.474:
	v_bfe_u32 v19, v0, 23, 1
; %bb.475:
	s_or_b64 exec, exec, s[0:1]
	v_lshrrev_b64 v[0:1], 20, v[0:1]
	v_cmp_gt_i32_e32 vcc, 16, v19
	v_cndmask_b32_e32 v1, 0, v1, vcc
	v_cndmask_b32_e32 v0, 7, v0, vcc
	v_cmp_ne_u32_e32 vcc, 0, v19
	v_cmp_ne_u64_e64 s[0:1], 0, v[0:1]
	s_or_b64 s[0:1], vcc, s[0:1]
                                        ; implicit-def: $vgpr12
	s_and_saveexec_b64 s[16:17], s[0:1]
	s_xor_b64 s[0:1], exec, s[16:17]
; %bb.476:
	v_min_i32_e32 v1, 15, v19
	v_lshl_or_b32 v1, v1, 3, v17
	v_and_or_b32 v12, v0, 7, v1
                                        ; implicit-def: $vgpr17
; %bb.477:
	s_andn2_saveexec_b64 s[0:1], s[0:1]
; %bb.478:
	v_mov_b32_e32 v12, v17
; %bb.479:
	s_or_b64 exec, exec, s[0:1]
.LBB13_480:
	s_or_b64 exec, exec, s[12:13]
.LBB13_481:
	s_andn2_saveexec_b64 s[0:1], s[10:11]
	s_or_b64 exec, exec, s[0:1]
                                        ; implicit-def: $vgpr19
                                        ; implicit-def: $vgpr0_vgpr1
.LBB13_482:
	s_andn2_saveexec_b64 s[0:1], s[8:9]
; %bb.483:
	s_movk_i32 s8, 0x7f
	v_or_b32_sdwa v17, v19, s8 dst_sel:DWORD dst_unused:UNUSED_PAD src0_sel:BYTE_3 src1_sel:DWORD
	v_cmp_eq_u64_e32 vcc, 0, v[0:1]
	v_cndmask_b32_e32 v12, v17, v12, vcc
; %bb.484:
	s_or_b64 exec, exec, s[0:1]
	v_mul_f32_e32 v0, s14, v13
	v_max_f32_e32 v0, 0xc3e00000, v0
	v_min_f32_e32 v19, 0x43e00000, v0
	v_mov_b32_e32 v1, 0
	s_movk_i32 s0, 0x80
	v_and_b32_sdwa v17, v19, s0 dst_sel:DWORD dst_unused:UNUSED_PAD src0_sel:BYTE_3 src1_sel:DWORD
	v_and_b32_e32 v20, 0x7f800000, v19
	v_mov_b32_e32 v21, v1
	s_mov_b64 s[0:1], 0x7f800000
	v_and_b32_e32 v0, 0x7fffff, v19
	v_or_b32_e32 v13, 0x7e, v17
	v_cmp_ne_u64_e32 vcc, s[0:1], v[20:21]
	s_and_saveexec_b64 s[0:1], vcc
	s_xor_b64 s[8:9], exec, s[0:1]
	s_cbranch_execz .LBB13_498
; %bb.485:
	v_and_b32_e32 v20, 0x7fffffff, v19
	v_mov_b32_e32 v21, v1
	s_mov_b64 s[0:1], 0x43e00001
	v_cmp_gt_u64_e32 vcc, s[0:1], v[20:21]
	s_and_saveexec_b64 s[0:1], vcc
	s_xor_b64 s[10:11], exec, s[0:1]
	s_cbranch_execz .LBB13_497
; %bb.486:
	v_cmp_ne_u32_e32 vcc, 0, v19
	v_mov_b32_e32 v13, 0
	s_and_saveexec_b64 s[12:13], vcc
	s_cbranch_execz .LBB13_496
; %bb.487:
	v_bfe_u32 v13, v19, 23, 8
	s_movk_i32 s0, 0x7a
	v_sub_u32_e32 v20, 0x79, v13
	v_cmp_gt_u32_e32 vcc, s0, v13
	v_add_u32_e32 v19, 0xffffff81, v13
	v_cndmask_b32_e32 v20, 0, v20, vcc
	v_mov_b32_e32 v22, 0xffffff82
	v_cmp_eq_u32_e32 vcc, 0, v13
	v_cndmask_b32_e32 v13, v19, v22, vcc
	v_mov_b32_e32 v19, 0x78
	v_cndmask_b32_e32 v19, v20, v19, vcc
	v_or_b32_e32 v21, 0x800000, v0
	v_add_u32_e32 v20, 20, v19
	v_cndmask_b32_e32 v0, v21, v0, vcc
	v_lshlrev_b64 v[20:21], v20, -1
	v_not_b32_e32 v20, v20
	v_and_b32_e32 v22, v0, v20
	v_add_u32_e32 v20, 19, v19
	v_lshrrev_b64 v[0:1], v19, v[0:1]
	v_not_b32_e32 v21, v21
	v_lshlrev_b64 v[24:25], v20, 1
	v_lshrrev_b32_e32 v20, 23, v0
	v_and_b32_e32 v23, 0, v21
	v_add3_u32 v20, v19, v13, v20
	v_bfe_u32 v19, v0, 20, 1
	v_add_u32_e32 v19, -1, v19
	v_cmp_eq_u64_e32 vcc, v[22:23], v[24:25]
	v_cndmask_b32_e32 v19, 0, v19, vcc
	v_add_u32_e32 v19, v19, v0
	v_and_b32_e32 v19, 0xfffff, v19
	v_add_co_u32_e32 v0, vcc, v19, v0
	v_add_u32_e32 v13, 6, v20
	v_addc_co_u32_e32 v1, vcc, 0, v1, vcc
	v_cmp_ne_u32_e32 vcc, 0, v13
                                        ; implicit-def: $vgpr19
	s_and_saveexec_b64 s[0:1], vcc
	s_xor_b64 s[0:1], exec, s[0:1]
; %bb.488:
	s_mov_b64 s[16:17], 0xffffff
	v_add_u32_e32 v19, 7, v20
	v_cmp_lt_u64_e32 vcc, s[16:17], v[0:1]
	v_cndmask_b32_e32 v19, v13, v19, vcc
	v_cndmask_b32_e64 v13, 0, 1, vcc
	v_lshrrev_b64 v[0:1], v13, v[0:1]
; %bb.489:
	s_andn2_saveexec_b64 s[0:1], s[0:1]
; %bb.490:
	v_bfe_u32 v19, v0, 23, 1
; %bb.491:
	s_or_b64 exec, exec, s[0:1]
	v_lshrrev_b64 v[0:1], 20, v[0:1]
	v_cmp_gt_i32_e32 vcc, 16, v19
	v_cndmask_b32_e32 v1, 0, v1, vcc
	v_cndmask_b32_e32 v0, 7, v0, vcc
	v_cmp_ne_u32_e32 vcc, 0, v19
	v_cmp_ne_u64_e64 s[0:1], 0, v[0:1]
	s_or_b64 s[0:1], vcc, s[0:1]
                                        ; implicit-def: $vgpr13
	s_and_saveexec_b64 s[16:17], s[0:1]
	s_xor_b64 s[0:1], exec, s[16:17]
; %bb.492:
	v_min_i32_e32 v1, 15, v19
	v_lshl_or_b32 v1, v1, 3, v17
	v_and_or_b32 v13, v0, 7, v1
                                        ; implicit-def: $vgpr17
; %bb.493:
	s_andn2_saveexec_b64 s[0:1], s[0:1]
; %bb.494:
	v_mov_b32_e32 v13, v17
; %bb.495:
	s_or_b64 exec, exec, s[0:1]
.LBB13_496:
	s_or_b64 exec, exec, s[12:13]
.LBB13_497:
	s_andn2_saveexec_b64 s[0:1], s[10:11]
	s_or_b64 exec, exec, s[0:1]
                                        ; implicit-def: $vgpr19
                                        ; implicit-def: $vgpr0_vgpr1
.LBB13_498:
	s_andn2_saveexec_b64 s[0:1], s[8:9]
; %bb.499:
	s_movk_i32 s8, 0x7f
	v_or_b32_sdwa v17, v19, s8 dst_sel:DWORD dst_unused:UNUSED_PAD src0_sel:BYTE_3 src1_sel:DWORD
	v_cmp_eq_u64_e32 vcc, 0, v[0:1]
	v_cndmask_b32_e32 v13, v17, v13, vcc
; %bb.500:
	s_or_b64 exec, exec, s[0:1]
	v_mul_f32_e32 v0, s14, v14
	v_max_f32_e32 v0, 0xc3e00000, v0
	v_min_f32_e32 v19, 0x43e00000, v0
	v_mov_b32_e32 v1, 0
	s_movk_i32 s0, 0x80
	v_and_b32_sdwa v17, v19, s0 dst_sel:DWORD dst_unused:UNUSED_PAD src0_sel:BYTE_3 src1_sel:DWORD
	v_and_b32_e32 v20, 0x7f800000, v19
	v_mov_b32_e32 v21, v1
	s_mov_b64 s[0:1], 0x7f800000
	v_and_b32_e32 v0, 0x7fffff, v19
	v_or_b32_e32 v14, 0x7e, v17
	v_cmp_ne_u64_e32 vcc, s[0:1], v[20:21]
	s_and_saveexec_b64 s[0:1], vcc
	s_xor_b64 s[8:9], exec, s[0:1]
	s_cbranch_execz .LBB13_514
; %bb.501:
	v_and_b32_e32 v20, 0x7fffffff, v19
	v_mov_b32_e32 v21, v1
	s_mov_b64 s[0:1], 0x43e00001
	v_cmp_gt_u64_e32 vcc, s[0:1], v[20:21]
	s_and_saveexec_b64 s[0:1], vcc
	s_xor_b64 s[10:11], exec, s[0:1]
	s_cbranch_execz .LBB13_513
; %bb.502:
	v_cmp_ne_u32_e32 vcc, 0, v19
	v_mov_b32_e32 v14, 0
	s_and_saveexec_b64 s[12:13], vcc
	s_cbranch_execz .LBB13_512
; %bb.503:
	v_bfe_u32 v14, v19, 23, 8
	s_movk_i32 s0, 0x7a
	v_sub_u32_e32 v20, 0x79, v14
	v_cmp_gt_u32_e32 vcc, s0, v14
	v_add_u32_e32 v19, 0xffffff81, v14
	v_cndmask_b32_e32 v20, 0, v20, vcc
	v_mov_b32_e32 v22, 0xffffff82
	v_cmp_eq_u32_e32 vcc, 0, v14
	v_cndmask_b32_e32 v14, v19, v22, vcc
	v_mov_b32_e32 v19, 0x78
	v_cndmask_b32_e32 v19, v20, v19, vcc
	v_or_b32_e32 v21, 0x800000, v0
	v_add_u32_e32 v20, 20, v19
	v_cndmask_b32_e32 v0, v21, v0, vcc
	v_lshlrev_b64 v[20:21], v20, -1
	v_not_b32_e32 v20, v20
	v_and_b32_e32 v22, v0, v20
	v_add_u32_e32 v20, 19, v19
	v_lshrrev_b64 v[0:1], v19, v[0:1]
	v_not_b32_e32 v21, v21
	v_lshlrev_b64 v[24:25], v20, 1
	v_lshrrev_b32_e32 v20, 23, v0
	v_and_b32_e32 v23, 0, v21
	v_add3_u32 v20, v19, v14, v20
	v_bfe_u32 v19, v0, 20, 1
	v_add_u32_e32 v19, -1, v19
	v_cmp_eq_u64_e32 vcc, v[22:23], v[24:25]
	v_cndmask_b32_e32 v19, 0, v19, vcc
	v_add_u32_e32 v19, v19, v0
	v_and_b32_e32 v19, 0xfffff, v19
	v_add_co_u32_e32 v0, vcc, v19, v0
	v_add_u32_e32 v14, 6, v20
	v_addc_co_u32_e32 v1, vcc, 0, v1, vcc
	v_cmp_ne_u32_e32 vcc, 0, v14
                                        ; implicit-def: $vgpr19
	s_and_saveexec_b64 s[0:1], vcc
	s_xor_b64 s[0:1], exec, s[0:1]
; %bb.504:
	s_mov_b64 s[16:17], 0xffffff
	v_add_u32_e32 v19, 7, v20
	v_cmp_lt_u64_e32 vcc, s[16:17], v[0:1]
	v_cndmask_b32_e32 v19, v14, v19, vcc
	v_cndmask_b32_e64 v14, 0, 1, vcc
	v_lshrrev_b64 v[0:1], v14, v[0:1]
; %bb.505:
	s_andn2_saveexec_b64 s[0:1], s[0:1]
; %bb.506:
	v_bfe_u32 v19, v0, 23, 1
; %bb.507:
	s_or_b64 exec, exec, s[0:1]
	v_lshrrev_b64 v[0:1], 20, v[0:1]
	v_cmp_gt_i32_e32 vcc, 16, v19
	v_cndmask_b32_e32 v1, 0, v1, vcc
	v_cndmask_b32_e32 v0, 7, v0, vcc
	v_cmp_ne_u32_e32 vcc, 0, v19
	v_cmp_ne_u64_e64 s[0:1], 0, v[0:1]
	s_or_b64 s[0:1], vcc, s[0:1]
                                        ; implicit-def: $vgpr14
	s_and_saveexec_b64 s[16:17], s[0:1]
	s_xor_b64 s[0:1], exec, s[16:17]
; %bb.508:
	v_min_i32_e32 v1, 15, v19
	v_lshl_or_b32 v1, v1, 3, v17
	v_and_or_b32 v14, v0, 7, v1
                                        ; implicit-def: $vgpr17
; %bb.509:
	s_andn2_saveexec_b64 s[0:1], s[0:1]
; %bb.510:
	v_mov_b32_e32 v14, v17
; %bb.511:
	s_or_b64 exec, exec, s[0:1]
.LBB13_512:
	s_or_b64 exec, exec, s[12:13]
.LBB13_513:
	s_andn2_saveexec_b64 s[0:1], s[10:11]
	s_or_b64 exec, exec, s[0:1]
                                        ; implicit-def: $vgpr19
                                        ; implicit-def: $vgpr0_vgpr1
.LBB13_514:
	s_andn2_saveexec_b64 s[0:1], s[8:9]
; %bb.515:
	s_movk_i32 s8, 0x7f
	v_or_b32_sdwa v17, v19, s8 dst_sel:DWORD dst_unused:UNUSED_PAD src0_sel:BYTE_3 src1_sel:DWORD
	v_cmp_eq_u64_e32 vcc, 0, v[0:1]
	v_cndmask_b32_e32 v14, v17, v14, vcc
; %bb.516:
	s_or_b64 exec, exec, s[0:1]
	s_load_dwordx2 s[8:9], s[4:5], 0x8
	v_mul_f32_e32 v0, s14, v15
	v_max_f32_e32 v0, 0xc3e00000, v0
	v_min_f32_e32 v17, 0x43e00000, v0
	v_mov_b32_e32 v1, 0
	s_movk_i32 s0, 0x80
	v_and_b32_sdwa v15, v17, s0 dst_sel:DWORD dst_unused:UNUSED_PAD src0_sel:BYTE_3 src1_sel:DWORD
	v_and_b32_e32 v20, 0x7f800000, v17
	v_mov_b32_e32 v21, v1
	s_mov_b64 s[0:1], 0x7f800000
	v_and_b32_e32 v0, 0x7fffff, v17
	v_or_b32_e32 v19, 0x7e, v15
	v_cmp_ne_u64_e32 vcc, s[0:1], v[20:21]
	s_and_saveexec_b64 s[0:1], vcc
	s_xor_b64 s[10:11], exec, s[0:1]
	s_cbranch_execz .LBB13_530
; %bb.517:
	v_and_b32_e32 v20, 0x7fffffff, v17
	v_mov_b32_e32 v21, v1
	s_mov_b64 s[0:1], 0x43e00001
	v_cmp_gt_u64_e32 vcc, s[0:1], v[20:21]
	s_and_saveexec_b64 s[0:1], vcc
	s_xor_b64 s[12:13], exec, s[0:1]
	s_cbranch_execz .LBB13_529
; %bb.518:
	v_cmp_ne_u32_e32 vcc, 0, v17
	v_mov_b32_e32 v19, 0
	s_and_saveexec_b64 s[14:15], vcc
	s_cbranch_execz .LBB13_528
; %bb.519:
	v_bfe_u32 v17, v17, 23, 8
	s_movk_i32 s0, 0x7a
	v_sub_u32_e32 v20, 0x79, v17
	v_cmp_gt_u32_e32 vcc, s0, v17
	v_add_u32_e32 v19, 0xffffff81, v17
	v_cndmask_b32_e32 v20, 0, v20, vcc
	v_mov_b32_e32 v22, 0xffffff82
	v_cmp_eq_u32_e32 vcc, 0, v17
	v_cndmask_b32_e32 v17, v19, v22, vcc
	v_mov_b32_e32 v19, 0x78
	v_cndmask_b32_e32 v19, v20, v19, vcc
	v_or_b32_e32 v21, 0x800000, v0
	v_add_u32_e32 v20, 20, v19
	v_cndmask_b32_e32 v0, v21, v0, vcc
	v_lshlrev_b64 v[20:21], v20, -1
	v_not_b32_e32 v20, v20
	v_and_b32_e32 v22, v0, v20
	v_add_u32_e32 v20, 19, v19
	v_lshrrev_b64 v[0:1], v19, v[0:1]
	v_not_b32_e32 v21, v21
	v_lshlrev_b64 v[24:25], v20, 1
	v_lshrrev_b32_e32 v20, 23, v0
	v_and_b32_e32 v23, 0, v21
	v_add3_u32 v20, v19, v17, v20
	v_bfe_u32 v17, v0, 20, 1
	v_add_u32_e32 v17, -1, v17
	v_cmp_eq_u64_e32 vcc, v[22:23], v[24:25]
	v_cndmask_b32_e32 v17, 0, v17, vcc
	v_add_u32_e32 v17, v17, v0
	v_and_b32_e32 v17, 0xfffff, v17
	v_add_co_u32_e32 v0, vcc, v17, v0
	v_add_u32_e32 v19, 6, v20
	v_addc_co_u32_e32 v1, vcc, 0, v1, vcc
	v_cmp_ne_u32_e32 vcc, 0, v19
                                        ; implicit-def: $vgpr17
	s_and_saveexec_b64 s[0:1], vcc
	s_xor_b64 s[0:1], exec, s[0:1]
; %bb.520:
	s_mov_b64 s[16:17], 0xffffff
	v_add_u32_e32 v17, 7, v20
	v_cmp_lt_u64_e32 vcc, s[16:17], v[0:1]
	v_cndmask_b32_e32 v17, v19, v17, vcc
	v_cndmask_b32_e64 v19, 0, 1, vcc
	v_lshrrev_b64 v[0:1], v19, v[0:1]
; %bb.521:
	s_andn2_saveexec_b64 s[0:1], s[0:1]
; %bb.522:
	v_bfe_u32 v17, v0, 23, 1
; %bb.523:
	s_or_b64 exec, exec, s[0:1]
	v_lshrrev_b64 v[0:1], 20, v[0:1]
	v_cmp_gt_i32_e32 vcc, 16, v17
	v_cndmask_b32_e32 v1, 0, v1, vcc
	v_cndmask_b32_e32 v0, 7, v0, vcc
	v_cmp_ne_u32_e32 vcc, 0, v17
	v_cmp_ne_u64_e64 s[0:1], 0, v[0:1]
	s_or_b64 s[0:1], vcc, s[0:1]
                                        ; implicit-def: $vgpr19
	s_and_saveexec_b64 s[16:17], s[0:1]
	s_xor_b64 s[0:1], exec, s[16:17]
; %bb.524:
	v_min_i32_e32 v1, 15, v17
	v_lshl_or_b32 v1, v1, 3, v15
	v_and_or_b32 v19, v0, 7, v1
                                        ; implicit-def: $vgpr15
; %bb.525:
	s_andn2_saveexec_b64 s[0:1], s[0:1]
; %bb.526:
	v_mov_b32_e32 v19, v15
; %bb.527:
	s_or_b64 exec, exec, s[0:1]
.LBB13_528:
	s_or_b64 exec, exec, s[14:15]
.LBB13_529:
	s_andn2_saveexec_b64 s[0:1], s[12:13]
	s_or_b64 exec, exec, s[0:1]
                                        ; implicit-def: $vgpr17
                                        ; implicit-def: $vgpr0_vgpr1
.LBB13_530:
	s_andn2_saveexec_b64 s[0:1], s[10:11]
; %bb.531:
	s_movk_i32 s10, 0x7f
	v_or_b32_sdwa v15, v17, s10 dst_sel:DWORD dst_unused:UNUSED_PAD src0_sel:BYTE_3 src1_sel:DWORD
	v_cmp_eq_u64_e32 vcc, 0, v[0:1]
	v_cndmask_b32_e32 v19, v15, v19, vcc
; %bb.532:
	s_or_b64 exec, exec, s[0:1]
	s_load_dwordx4 s[12:15], s[4:5], 0x10
	s_waitcnt lgkmcnt(0)
	v_pk_mov_b32 v[0:1], s[8:9], s[8:9] op_sel:[0,1]
	s_or_b64 s[6:7], s[6:7], exec
	v_mad_u64_u32 v[0:1], s[0:1], v32, s12, v[0:1]
	v_mul_lo_u32 v15, v32, s13
	v_mul_lo_u32 v17, v33, s12
	v_add3_u32 v1, v17, v1, v15
	v_mad_u64_u32 v[20:21], s[0:1], v34, s14, v[0:1]
	v_mul_lo_u32 v0, v34, s15
	v_mul_lo_u32 v1, v35, s14
	v_add3_u32 v21, v1, v21, v0
	v_lshlrev_b16_e32 v0, 8, v16
	v_lshlrev_b16_e32 v1, 8, v3
	v_or_b32_sdwa v0, v18, v0 dst_sel:DWORD dst_unused:UNUSED_PAD src0_sel:BYTE_0 src1_sel:DWORD
	v_or_b32_sdwa v1, v2, v1 dst_sel:WORD_1 dst_unused:UNUSED_PAD src0_sel:BYTE_0 src1_sel:DWORD
	v_or_b32_sdwa v16, v0, v1 dst_sel:DWORD dst_unused:UNUSED_PAD src0_sel:WORD_0 src1_sel:DWORD
	v_lshlrev_b16_e32 v0, 8, v5
	v_lshlrev_b16_e32 v1, 8, v7
	v_or_b32_sdwa v0, v4, v0 dst_sel:DWORD dst_unused:UNUSED_PAD src0_sel:BYTE_0 src1_sel:DWORD
	v_or_b32_sdwa v1, v6, v1 dst_sel:WORD_1 dst_unused:UNUSED_PAD src0_sel:BYTE_0 src1_sel:DWORD
	v_or_b32_sdwa v17, v0, v1 dst_sel:DWORD dst_unused:UNUSED_PAD src0_sel:WORD_0 src1_sel:DWORD
	;; [unrolled: 5-line block ×4, first 2 shown]
	s_or_b64 exec, exec, s[2:3]
	s_and_b64 exec, exec, s[6:7]
	s_cbranch_execnz .LBB13_11
	s_branch .LBB13_12
	.section	.rodata,"a",@progbits
	.p2align	6, 0x0
	.amdhsa_kernel _ZN4vllm21deepseek_v4_fused_ops30fusedDeepseekV4FullCacheKernelIN3c108BFloat16ELb1ELb1EEEvPT_PhllPKS4_S6_PKlSA_PKfSC_SC_fiiiill
		.amdhsa_group_segment_fixed_size 0
		.amdhsa_private_segment_fixed_size 0
		.amdhsa_kernarg_size 384
		.amdhsa_user_sgpr_count 6
		.amdhsa_user_sgpr_private_segment_buffer 1
		.amdhsa_user_sgpr_dispatch_ptr 0
		.amdhsa_user_sgpr_queue_ptr 0
		.amdhsa_user_sgpr_kernarg_segment_ptr 1
		.amdhsa_user_sgpr_dispatch_id 0
		.amdhsa_user_sgpr_flat_scratch_init 0
		.amdhsa_user_sgpr_kernarg_preload_length 0
		.amdhsa_user_sgpr_kernarg_preload_offset 0
		.amdhsa_user_sgpr_private_segment_size 0
		.amdhsa_uses_dynamic_stack 0
		.amdhsa_system_sgpr_private_segment_wavefront_offset 0
		.amdhsa_system_sgpr_workgroup_id_x 1
		.amdhsa_system_sgpr_workgroup_id_y 0
		.amdhsa_system_sgpr_workgroup_id_z 0
		.amdhsa_system_sgpr_workgroup_info 0
		.amdhsa_system_vgpr_workitem_id 0
		.amdhsa_next_free_vgpr 56
		.amdhsa_next_free_sgpr 20
		.amdhsa_accum_offset 56
		.amdhsa_reserve_vcc 1
		.amdhsa_reserve_flat_scratch 0
		.amdhsa_float_round_mode_32 0
		.amdhsa_float_round_mode_16_64 0
		.amdhsa_float_denorm_mode_32 3
		.amdhsa_float_denorm_mode_16_64 3
		.amdhsa_dx10_clamp 1
		.amdhsa_ieee_mode 1
		.amdhsa_fp16_overflow 0
		.amdhsa_tg_split 0
		.amdhsa_exception_fp_ieee_invalid_op 0
		.amdhsa_exception_fp_denorm_src 0
		.amdhsa_exception_fp_ieee_div_zero 0
		.amdhsa_exception_fp_ieee_overflow 0
		.amdhsa_exception_fp_ieee_underflow 0
		.amdhsa_exception_fp_ieee_inexact 0
		.amdhsa_exception_int_div_zero 0
	.end_amdhsa_kernel
	.section	.text._ZN4vllm21deepseek_v4_fused_ops30fusedDeepseekV4FullCacheKernelIN3c108BFloat16ELb1ELb1EEEvPT_PhllPKS4_S6_PKlSA_PKfSC_SC_fiiiill,"axG",@progbits,_ZN4vllm21deepseek_v4_fused_ops30fusedDeepseekV4FullCacheKernelIN3c108BFloat16ELb1ELb1EEEvPT_PhllPKS4_S6_PKlSA_PKfSC_SC_fiiiill,comdat
.Lfunc_end13:
	.size	_ZN4vllm21deepseek_v4_fused_ops30fusedDeepseekV4FullCacheKernelIN3c108BFloat16ELb1ELb1EEEvPT_PhllPKS4_S6_PKlSA_PKfSC_SC_fiiiill, .Lfunc_end13-_ZN4vllm21deepseek_v4_fused_ops30fusedDeepseekV4FullCacheKernelIN3c108BFloat16ELb1ELb1EEEvPT_PhllPKS4_S6_PKlSA_PKfSC_SC_fiiiill
                                        ; -- End function
	.section	.AMDGPU.csdata,"",@progbits
; Kernel info:
; codeLenInByte = 18960
; NumSgprs: 24
; NumVgprs: 56
; NumAgprs: 0
; TotalNumVgprs: 56
; ScratchSize: 0
; MemoryBound: 0
; FloatMode: 240
; IeeeMode: 1
; LDSByteSize: 0 bytes/workgroup (compile time only)
; SGPRBlocks: 2
; VGPRBlocks: 6
; NumSGPRsForWavesPerEU: 24
; NumVGPRsForWavesPerEU: 56
; AccumOffset: 56
; Occupancy: 8
; WaveLimiterHint : 1
; COMPUTE_PGM_RSRC2:SCRATCH_EN: 0
; COMPUTE_PGM_RSRC2:USER_SGPR: 6
; COMPUTE_PGM_RSRC2:TRAP_HANDLER: 0
; COMPUTE_PGM_RSRC2:TGID_X_EN: 1
; COMPUTE_PGM_RSRC2:TGID_Y_EN: 0
; COMPUTE_PGM_RSRC2:TGID_Z_EN: 0
; COMPUTE_PGM_RSRC2:TIDIG_COMP_CNT: 0
; COMPUTE_PGM_RSRC3_GFX90A:ACCUM_OFFSET: 13
; COMPUTE_PGM_RSRC3_GFX90A:TG_SPLIT: 0
	.text
	.p2alignl 6, 3212836864
	.fill 256, 4, 3212836864
	.type	__hip_cuid_d624d94e7befaa68,@object ; @__hip_cuid_d624d94e7befaa68
	.section	.bss,"aw",@nobits
	.globl	__hip_cuid_d624d94e7befaa68
__hip_cuid_d624d94e7befaa68:
	.byte	0                               ; 0x0
	.size	__hip_cuid_d624d94e7befaa68, 1

	.ident	"AMD clang version 19.0.0git (https://github.com/RadeonOpenCompute/llvm-project roc-6.4.0 25133 c7fe45cf4b819c5991fe208aaa96edf142730f1d)"
	.section	".note.GNU-stack","",@progbits
	.addrsig
	.addrsig_sym __hip_cuid_d624d94e7befaa68
	.amdgpu_metadata
---
amdhsa.kernels:
  - .agpr_count:     0
    .args:
      - .actual_access:  read_only
        .address_space:  global
        .offset:         0
        .size:           8
        .value_kind:     global_buffer
      - .actual_access:  write_only
        .address_space:  global
        .offset:         8
        .size:           8
        .value_kind:     global_buffer
      - .actual_access:  read_only
        .address_space:  global
        .offset:         16
        .size:           8
        .value_kind:     global_buffer
      - .actual_access:  write_only
        .address_space:  global
        .offset:         24
        .size:           8
        .value_kind:     global_buffer
      - .actual_access:  read_only
        .address_space:  global
        .offset:         32
        .size:           8
        .value_kind:     global_buffer
      - .actual_access:  read_only
        .address_space:  global
        .offset:         40
        .size:           8
        .value_kind:     global_buffer
      - .actual_access:  read_only
        .address_space:  global
        .offset:         48
        .size:           8
        .value_kind:     global_buffer
      - .offset:         56
        .size:           4
        .value_kind:     by_value
      - .offset:         60
        .size:           4
        .value_kind:     by_value
      - .offset:         64
        .size:           4
        .value_kind:     by_value
      - .offset:         68
        .size:           4
        .value_kind:     by_value
      - .offset:         72
        .size:           4
        .value_kind:     by_value
      - .offset:         76
        .size:           4
        .value_kind:     by_value
      - .offset:         80
        .size:           4
        .value_kind:     hidden_block_count_x
      - .offset:         84
        .size:           4
        .value_kind:     hidden_block_count_y
      - .offset:         88
        .size:           4
        .value_kind:     hidden_block_count_z
      - .offset:         92
        .size:           2
        .value_kind:     hidden_group_size_x
      - .offset:         94
        .size:           2
        .value_kind:     hidden_group_size_y
      - .offset:         96
        .size:           2
        .value_kind:     hidden_group_size_z
      - .offset:         98
        .size:           2
        .value_kind:     hidden_remainder_x
      - .offset:         100
        .size:           2
        .value_kind:     hidden_remainder_y
      - .offset:         102
        .size:           2
        .value_kind:     hidden_remainder_z
      - .offset:         120
        .size:           8
        .value_kind:     hidden_global_offset_x
      - .offset:         128
        .size:           8
        .value_kind:     hidden_global_offset_y
      - .offset:         136
        .size:           8
        .value_kind:     hidden_global_offset_z
      - .offset:         144
        .size:           2
        .value_kind:     hidden_grid_dims
    .group_segment_fixed_size: 0
    .kernarg_segment_align: 8
    .kernarg_segment_size: 336
    .language:       OpenCL C
    .language_version:
      - 2
      - 0
    .max_flat_workgroup_size: 1024
    .name:           _ZN4vllm21deepseek_v4_fused_ops47fusedDeepseekV4QNormRopeKVRopeQuantInsertKernelIN3c104HalfELi8EEEvPKT_PS4_S6_PhPKlSA_PKffiiiii
    .private_segment_fixed_size: 0
    .sgpr_count:     32
    .sgpr_spill_count: 0
    .symbol:         _ZN4vllm21deepseek_v4_fused_ops47fusedDeepseekV4QNormRopeKVRopeQuantInsertKernelIN3c104HalfELi8EEEvPKT_PS4_S6_PhPKlSA_PKffiiiii.kd
    .uniform_work_group_size: 1
    .uses_dynamic_stack: false
    .vgpr_count:     48
    .vgpr_spill_count: 0
    .wavefront_size: 64
  - .agpr_count:     0
    .args:
      - .actual_access:  read_only
        .address_space:  global
        .offset:         0
        .size:           8
        .value_kind:     global_buffer
      - .actual_access:  write_only
        .address_space:  global
        .offset:         8
        .size:           8
        .value_kind:     global_buffer
      - .actual_access:  read_only
        .address_space:  global
        .offset:         16
        .size:           8
        .value_kind:     global_buffer
      - .actual_access:  write_only
        .address_space:  global
        .offset:         24
        .size:           8
        .value_kind:     global_buffer
      - .actual_access:  read_only
        .address_space:  global
        .offset:         32
        .size:           8
        .value_kind:     global_buffer
      - .actual_access:  read_only
        .address_space:  global
        .offset:         40
        .size:           8
        .value_kind:     global_buffer
      - .actual_access:  read_only
        .address_space:  global
        .offset:         48
        .size:           8
        .value_kind:     global_buffer
      - .offset:         56
        .size:           4
        .value_kind:     by_value
      - .offset:         60
        .size:           4
        .value_kind:     by_value
      - .offset:         64
        .size:           4
        .value_kind:     by_value
      - .offset:         68
        .size:           4
        .value_kind:     by_value
      - .offset:         72
        .size:           4
        .value_kind:     by_value
      - .offset:         76
        .size:           4
        .value_kind:     by_value
      - .offset:         80
        .size:           4
        .value_kind:     hidden_block_count_x
      - .offset:         84
        .size:           4
        .value_kind:     hidden_block_count_y
      - .offset:         88
        .size:           4
        .value_kind:     hidden_block_count_z
      - .offset:         92
        .size:           2
        .value_kind:     hidden_group_size_x
      - .offset:         94
        .size:           2
        .value_kind:     hidden_group_size_y
      - .offset:         96
        .size:           2
        .value_kind:     hidden_group_size_z
      - .offset:         98
        .size:           2
        .value_kind:     hidden_remainder_x
      - .offset:         100
        .size:           2
        .value_kind:     hidden_remainder_y
      - .offset:         102
        .size:           2
        .value_kind:     hidden_remainder_z
      - .offset:         120
        .size:           8
        .value_kind:     hidden_global_offset_x
      - .offset:         128
        .size:           8
        .value_kind:     hidden_global_offset_y
      - .offset:         136
        .size:           8
        .value_kind:     hidden_global_offset_z
      - .offset:         144
        .size:           2
        .value_kind:     hidden_grid_dims
    .group_segment_fixed_size: 0
    .kernarg_segment_align: 8
    .kernarg_segment_size: 336
    .language:       OpenCL C
    .language_version:
      - 2
      - 0
    .max_flat_workgroup_size: 1024
    .name:           _ZN4vllm21deepseek_v4_fused_ops47fusedDeepseekV4QNormRopeKVRopeQuantInsertKernelIN3c104HalfELi16EEEvPKT_PS4_S6_PhPKlSA_PKffiiiii
    .private_segment_fixed_size: 0
    .sgpr_count:     32
    .sgpr_spill_count: 0
    .symbol:         _ZN4vllm21deepseek_v4_fused_ops47fusedDeepseekV4QNormRopeKVRopeQuantInsertKernelIN3c104HalfELi16EEEvPKT_PS4_S6_PhPKlSA_PKffiiiii.kd
    .uniform_work_group_size: 1
    .uses_dynamic_stack: false
    .vgpr_count:     48
    .vgpr_spill_count: 0
    .wavefront_size: 64
  - .agpr_count:     0
    .args:
      - .actual_access:  read_only
        .address_space:  global
        .offset:         0
        .size:           8
        .value_kind:     global_buffer
      - .actual_access:  write_only
        .address_space:  global
        .offset:         8
        .size:           8
        .value_kind:     global_buffer
      - .actual_access:  read_only
        .address_space:  global
        .offset:         16
        .size:           8
        .value_kind:     global_buffer
      - .actual_access:  write_only
        .address_space:  global
        .offset:         24
        .size:           8
        .value_kind:     global_buffer
      - .actual_access:  read_only
        .address_space:  global
        .offset:         32
        .size:           8
        .value_kind:     global_buffer
      - .actual_access:  read_only
        .address_space:  global
        .offset:         40
        .size:           8
        .value_kind:     global_buffer
      - .actual_access:  read_only
        .address_space:  global
        .offset:         48
        .size:           8
        .value_kind:     global_buffer
      - .offset:         56
        .size:           4
        .value_kind:     by_value
      - .offset:         60
        .size:           4
        .value_kind:     by_value
      - .offset:         64
        .size:           4
        .value_kind:     by_value
      - .offset:         68
        .size:           4
        .value_kind:     by_value
      - .offset:         72
        .size:           4
        .value_kind:     by_value
      - .offset:         76
        .size:           4
        .value_kind:     by_value
      - .offset:         80
        .size:           4
        .value_kind:     hidden_block_count_x
      - .offset:         84
        .size:           4
        .value_kind:     hidden_block_count_y
      - .offset:         88
        .size:           4
        .value_kind:     hidden_block_count_z
      - .offset:         92
        .size:           2
        .value_kind:     hidden_group_size_x
      - .offset:         94
        .size:           2
        .value_kind:     hidden_group_size_y
      - .offset:         96
        .size:           2
        .value_kind:     hidden_group_size_z
      - .offset:         98
        .size:           2
        .value_kind:     hidden_remainder_x
      - .offset:         100
        .size:           2
        .value_kind:     hidden_remainder_y
      - .offset:         102
        .size:           2
        .value_kind:     hidden_remainder_z
      - .offset:         120
        .size:           8
        .value_kind:     hidden_global_offset_x
      - .offset:         128
        .size:           8
        .value_kind:     hidden_global_offset_y
      - .offset:         136
        .size:           8
        .value_kind:     hidden_global_offset_z
      - .offset:         144
        .size:           2
        .value_kind:     hidden_grid_dims
    .group_segment_fixed_size: 0
    .kernarg_segment_align: 8
    .kernarg_segment_size: 336
    .language:       OpenCL C
    .language_version:
      - 2
      - 0
    .max_flat_workgroup_size: 1024
    .name:           _ZN4vllm21deepseek_v4_fused_ops47fusedDeepseekV4QNormRopeKVRopeQuantInsertKernelIN3c104HalfELi32EEEvPKT_PS4_S6_PhPKlSA_PKffiiiii
    .private_segment_fixed_size: 0
    .sgpr_count:     32
    .sgpr_spill_count: 0
    .symbol:         _ZN4vllm21deepseek_v4_fused_ops47fusedDeepseekV4QNormRopeKVRopeQuantInsertKernelIN3c104HalfELi32EEEvPKT_PS4_S6_PhPKlSA_PKffiiiii.kd
    .uniform_work_group_size: 1
    .uses_dynamic_stack: false
    .vgpr_count:     48
    .vgpr_spill_count: 0
    .wavefront_size: 64
  - .agpr_count:     0
    .args:
      - .actual_access:  read_only
        .address_space:  global
        .offset:         0
        .size:           8
        .value_kind:     global_buffer
      - .actual_access:  write_only
        .address_space:  global
        .offset:         8
        .size:           8
        .value_kind:     global_buffer
      - .actual_access:  read_only
        .address_space:  global
        .offset:         16
        .size:           8
        .value_kind:     global_buffer
      - .actual_access:  write_only
        .address_space:  global
        .offset:         24
        .size:           8
        .value_kind:     global_buffer
      - .actual_access:  read_only
        .address_space:  global
        .offset:         32
        .size:           8
        .value_kind:     global_buffer
      - .actual_access:  read_only
        .address_space:  global
        .offset:         40
        .size:           8
        .value_kind:     global_buffer
      - .actual_access:  read_only
        .address_space:  global
        .offset:         48
        .size:           8
        .value_kind:     global_buffer
      - .offset:         56
        .size:           4
        .value_kind:     by_value
      - .offset:         60
        .size:           4
        .value_kind:     by_value
      - .offset:         64
        .size:           4
        .value_kind:     by_value
      - .offset:         68
        .size:           4
        .value_kind:     by_value
      - .offset:         72
        .size:           4
        .value_kind:     by_value
      - .offset:         76
        .size:           4
        .value_kind:     by_value
      - .offset:         80
        .size:           4
        .value_kind:     hidden_block_count_x
      - .offset:         84
        .size:           4
        .value_kind:     hidden_block_count_y
      - .offset:         88
        .size:           4
        .value_kind:     hidden_block_count_z
      - .offset:         92
        .size:           2
        .value_kind:     hidden_group_size_x
      - .offset:         94
        .size:           2
        .value_kind:     hidden_group_size_y
      - .offset:         96
        .size:           2
        .value_kind:     hidden_group_size_z
      - .offset:         98
        .size:           2
        .value_kind:     hidden_remainder_x
      - .offset:         100
        .size:           2
        .value_kind:     hidden_remainder_y
      - .offset:         102
        .size:           2
        .value_kind:     hidden_remainder_z
      - .offset:         120
        .size:           8
        .value_kind:     hidden_global_offset_x
      - .offset:         128
        .size:           8
        .value_kind:     hidden_global_offset_y
      - .offset:         136
        .size:           8
        .value_kind:     hidden_global_offset_z
      - .offset:         144
        .size:           2
        .value_kind:     hidden_grid_dims
    .group_segment_fixed_size: 0
    .kernarg_segment_align: 8
    .kernarg_segment_size: 336
    .language:       OpenCL C
    .language_version:
      - 2
      - 0
    .max_flat_workgroup_size: 1024
    .name:           _ZN4vllm21deepseek_v4_fused_ops47fusedDeepseekV4QNormRopeKVRopeQuantInsertKernelIN3c104HalfELi64EEEvPKT_PS4_S6_PhPKlSA_PKffiiiii
    .private_segment_fixed_size: 0
    .sgpr_count:     32
    .sgpr_spill_count: 0
    .symbol:         _ZN4vllm21deepseek_v4_fused_ops47fusedDeepseekV4QNormRopeKVRopeQuantInsertKernelIN3c104HalfELi64EEEvPKT_PS4_S6_PhPKlSA_PKffiiiii.kd
    .uniform_work_group_size: 1
    .uses_dynamic_stack: false
    .vgpr_count:     48
    .vgpr_spill_count: 0
    .wavefront_size: 64
  - .agpr_count:     0
    .args:
      - .actual_access:  read_only
        .address_space:  global
        .offset:         0
        .size:           8
        .value_kind:     global_buffer
      - .actual_access:  write_only
        .address_space:  global
        .offset:         8
        .size:           8
        .value_kind:     global_buffer
      - .actual_access:  read_only
        .address_space:  global
        .offset:         16
        .size:           8
        .value_kind:     global_buffer
      - .actual_access:  write_only
        .address_space:  global
        .offset:         24
        .size:           8
        .value_kind:     global_buffer
      - .actual_access:  read_only
        .address_space:  global
        .offset:         32
        .size:           8
        .value_kind:     global_buffer
      - .actual_access:  read_only
        .address_space:  global
        .offset:         40
        .size:           8
        .value_kind:     global_buffer
      - .actual_access:  read_only
        .address_space:  global
        .offset:         48
        .size:           8
        .value_kind:     global_buffer
      - .offset:         56
        .size:           4
        .value_kind:     by_value
      - .offset:         60
        .size:           4
        .value_kind:     by_value
      - .offset:         64
        .size:           4
        .value_kind:     by_value
      - .offset:         68
        .size:           4
        .value_kind:     by_value
      - .offset:         72
        .size:           4
        .value_kind:     by_value
      - .offset:         76
        .size:           4
        .value_kind:     by_value
      - .offset:         80
        .size:           4
        .value_kind:     hidden_block_count_x
      - .offset:         84
        .size:           4
        .value_kind:     hidden_block_count_y
      - .offset:         88
        .size:           4
        .value_kind:     hidden_block_count_z
      - .offset:         92
        .size:           2
        .value_kind:     hidden_group_size_x
      - .offset:         94
        .size:           2
        .value_kind:     hidden_group_size_y
      - .offset:         96
        .size:           2
        .value_kind:     hidden_group_size_z
      - .offset:         98
        .size:           2
        .value_kind:     hidden_remainder_x
      - .offset:         100
        .size:           2
        .value_kind:     hidden_remainder_y
      - .offset:         102
        .size:           2
        .value_kind:     hidden_remainder_z
      - .offset:         120
        .size:           8
        .value_kind:     hidden_global_offset_x
      - .offset:         128
        .size:           8
        .value_kind:     hidden_global_offset_y
      - .offset:         136
        .size:           8
        .value_kind:     hidden_global_offset_z
      - .offset:         144
        .size:           2
        .value_kind:     hidden_grid_dims
    .group_segment_fixed_size: 0
    .kernarg_segment_align: 8
    .kernarg_segment_size: 336
    .language:       OpenCL C
    .language_version:
      - 2
      - 0
    .max_flat_workgroup_size: 1024
    .name:           _ZN4vllm21deepseek_v4_fused_ops47fusedDeepseekV4QNormRopeKVRopeQuantInsertKernelIN3c104HalfELi128EEEvPKT_PS4_S6_PhPKlSA_PKffiiiii
    .private_segment_fixed_size: 0
    .sgpr_count:     32
    .sgpr_spill_count: 0
    .symbol:         _ZN4vllm21deepseek_v4_fused_ops47fusedDeepseekV4QNormRopeKVRopeQuantInsertKernelIN3c104HalfELi128EEEvPKT_PS4_S6_PhPKlSA_PKffiiiii.kd
    .uniform_work_group_size: 1
    .uses_dynamic_stack: false
    .vgpr_count:     48
    .vgpr_spill_count: 0
    .wavefront_size: 64
  - .agpr_count:     0
    .args:
      - .actual_access:  read_only
        .address_space:  global
        .offset:         0
        .size:           8
        .value_kind:     global_buffer
      - .actual_access:  write_only
        .address_space:  global
        .offset:         8
        .size:           8
        .value_kind:     global_buffer
      - .actual_access:  read_only
        .address_space:  global
        .offset:         16
        .size:           8
        .value_kind:     global_buffer
      - .actual_access:  write_only
        .address_space:  global
        .offset:         24
        .size:           8
        .value_kind:     global_buffer
      - .actual_access:  read_only
        .address_space:  global
        .offset:         32
        .size:           8
        .value_kind:     global_buffer
      - .actual_access:  read_only
        .address_space:  global
        .offset:         40
        .size:           8
        .value_kind:     global_buffer
      - .actual_access:  read_only
        .address_space:  global
        .offset:         48
        .size:           8
        .value_kind:     global_buffer
      - .offset:         56
        .size:           4
        .value_kind:     by_value
      - .offset:         60
        .size:           4
        .value_kind:     by_value
      - .offset:         64
        .size:           4
        .value_kind:     by_value
      - .offset:         68
        .size:           4
        .value_kind:     by_value
      - .offset:         72
        .size:           4
        .value_kind:     by_value
      - .offset:         76
        .size:           4
        .value_kind:     by_value
      - .offset:         80
        .size:           4
        .value_kind:     hidden_block_count_x
      - .offset:         84
        .size:           4
        .value_kind:     hidden_block_count_y
      - .offset:         88
        .size:           4
        .value_kind:     hidden_block_count_z
      - .offset:         92
        .size:           2
        .value_kind:     hidden_group_size_x
      - .offset:         94
        .size:           2
        .value_kind:     hidden_group_size_y
      - .offset:         96
        .size:           2
        .value_kind:     hidden_group_size_z
      - .offset:         98
        .size:           2
        .value_kind:     hidden_remainder_x
      - .offset:         100
        .size:           2
        .value_kind:     hidden_remainder_y
      - .offset:         102
        .size:           2
        .value_kind:     hidden_remainder_z
      - .offset:         120
        .size:           8
        .value_kind:     hidden_global_offset_x
      - .offset:         128
        .size:           8
        .value_kind:     hidden_global_offset_y
      - .offset:         136
        .size:           8
        .value_kind:     hidden_global_offset_z
      - .offset:         144
        .size:           2
        .value_kind:     hidden_grid_dims
    .group_segment_fixed_size: 0
    .kernarg_segment_align: 8
    .kernarg_segment_size: 336
    .language:       OpenCL C
    .language_version:
      - 2
      - 0
    .max_flat_workgroup_size: 1024
    .name:           _ZN4vllm21deepseek_v4_fused_ops47fusedDeepseekV4QNormRopeKVRopeQuantInsertKernelIN3c108BFloat16ELi8EEEvPKT_PS4_S6_PhPKlSA_PKffiiiii
    .private_segment_fixed_size: 0
    .sgpr_count:     32
    .sgpr_spill_count: 0
    .symbol:         _ZN4vllm21deepseek_v4_fused_ops47fusedDeepseekV4QNormRopeKVRopeQuantInsertKernelIN3c108BFloat16ELi8EEEvPKT_PS4_S6_PhPKlSA_PKffiiiii.kd
    .uniform_work_group_size: 1
    .uses_dynamic_stack: false
    .vgpr_count:     56
    .vgpr_spill_count: 0
    .wavefront_size: 64
  - .agpr_count:     0
    .args:
      - .actual_access:  read_only
        .address_space:  global
        .offset:         0
        .size:           8
        .value_kind:     global_buffer
      - .actual_access:  write_only
        .address_space:  global
        .offset:         8
        .size:           8
        .value_kind:     global_buffer
      - .actual_access:  read_only
        .address_space:  global
        .offset:         16
        .size:           8
        .value_kind:     global_buffer
      - .actual_access:  write_only
        .address_space:  global
        .offset:         24
        .size:           8
        .value_kind:     global_buffer
      - .actual_access:  read_only
        .address_space:  global
        .offset:         32
        .size:           8
        .value_kind:     global_buffer
      - .actual_access:  read_only
        .address_space:  global
        .offset:         40
        .size:           8
        .value_kind:     global_buffer
      - .actual_access:  read_only
        .address_space:  global
        .offset:         48
        .size:           8
        .value_kind:     global_buffer
      - .offset:         56
        .size:           4
        .value_kind:     by_value
      - .offset:         60
        .size:           4
        .value_kind:     by_value
      - .offset:         64
        .size:           4
        .value_kind:     by_value
      - .offset:         68
        .size:           4
        .value_kind:     by_value
      - .offset:         72
        .size:           4
        .value_kind:     by_value
      - .offset:         76
        .size:           4
        .value_kind:     by_value
      - .offset:         80
        .size:           4
        .value_kind:     hidden_block_count_x
      - .offset:         84
        .size:           4
        .value_kind:     hidden_block_count_y
      - .offset:         88
        .size:           4
        .value_kind:     hidden_block_count_z
      - .offset:         92
        .size:           2
        .value_kind:     hidden_group_size_x
      - .offset:         94
        .size:           2
        .value_kind:     hidden_group_size_y
      - .offset:         96
        .size:           2
        .value_kind:     hidden_group_size_z
      - .offset:         98
        .size:           2
        .value_kind:     hidden_remainder_x
      - .offset:         100
        .size:           2
        .value_kind:     hidden_remainder_y
      - .offset:         102
        .size:           2
        .value_kind:     hidden_remainder_z
      - .offset:         120
        .size:           8
        .value_kind:     hidden_global_offset_x
      - .offset:         128
        .size:           8
        .value_kind:     hidden_global_offset_y
      - .offset:         136
        .size:           8
        .value_kind:     hidden_global_offset_z
      - .offset:         144
        .size:           2
        .value_kind:     hidden_grid_dims
    .group_segment_fixed_size: 0
    .kernarg_segment_align: 8
    .kernarg_segment_size: 336
    .language:       OpenCL C
    .language_version:
      - 2
      - 0
    .max_flat_workgroup_size: 1024
    .name:           _ZN4vllm21deepseek_v4_fused_ops47fusedDeepseekV4QNormRopeKVRopeQuantInsertKernelIN3c108BFloat16ELi16EEEvPKT_PS4_S6_PhPKlSA_PKffiiiii
    .private_segment_fixed_size: 0
    .sgpr_count:     32
    .sgpr_spill_count: 0
    .symbol:         _ZN4vllm21deepseek_v4_fused_ops47fusedDeepseekV4QNormRopeKVRopeQuantInsertKernelIN3c108BFloat16ELi16EEEvPKT_PS4_S6_PhPKlSA_PKffiiiii.kd
    .uniform_work_group_size: 1
    .uses_dynamic_stack: false
    .vgpr_count:     56
    .vgpr_spill_count: 0
    .wavefront_size: 64
  - .agpr_count:     0
    .args:
      - .actual_access:  read_only
        .address_space:  global
        .offset:         0
        .size:           8
        .value_kind:     global_buffer
      - .actual_access:  write_only
        .address_space:  global
        .offset:         8
        .size:           8
        .value_kind:     global_buffer
      - .actual_access:  read_only
        .address_space:  global
        .offset:         16
        .size:           8
        .value_kind:     global_buffer
      - .actual_access:  write_only
        .address_space:  global
        .offset:         24
        .size:           8
        .value_kind:     global_buffer
      - .actual_access:  read_only
        .address_space:  global
        .offset:         32
        .size:           8
        .value_kind:     global_buffer
      - .actual_access:  read_only
        .address_space:  global
        .offset:         40
        .size:           8
        .value_kind:     global_buffer
      - .actual_access:  read_only
        .address_space:  global
        .offset:         48
        .size:           8
        .value_kind:     global_buffer
      - .offset:         56
        .size:           4
        .value_kind:     by_value
      - .offset:         60
        .size:           4
        .value_kind:     by_value
      - .offset:         64
        .size:           4
        .value_kind:     by_value
      - .offset:         68
        .size:           4
        .value_kind:     by_value
      - .offset:         72
        .size:           4
        .value_kind:     by_value
      - .offset:         76
        .size:           4
        .value_kind:     by_value
      - .offset:         80
        .size:           4
        .value_kind:     hidden_block_count_x
      - .offset:         84
        .size:           4
        .value_kind:     hidden_block_count_y
      - .offset:         88
        .size:           4
        .value_kind:     hidden_block_count_z
      - .offset:         92
        .size:           2
        .value_kind:     hidden_group_size_x
      - .offset:         94
        .size:           2
        .value_kind:     hidden_group_size_y
      - .offset:         96
        .size:           2
        .value_kind:     hidden_group_size_z
      - .offset:         98
        .size:           2
        .value_kind:     hidden_remainder_x
      - .offset:         100
        .size:           2
        .value_kind:     hidden_remainder_y
      - .offset:         102
        .size:           2
        .value_kind:     hidden_remainder_z
      - .offset:         120
        .size:           8
        .value_kind:     hidden_global_offset_x
      - .offset:         128
        .size:           8
        .value_kind:     hidden_global_offset_y
      - .offset:         136
        .size:           8
        .value_kind:     hidden_global_offset_z
      - .offset:         144
        .size:           2
        .value_kind:     hidden_grid_dims
    .group_segment_fixed_size: 0
    .kernarg_segment_align: 8
    .kernarg_segment_size: 336
    .language:       OpenCL C
    .language_version:
      - 2
      - 0
    .max_flat_workgroup_size: 1024
    .name:           _ZN4vllm21deepseek_v4_fused_ops47fusedDeepseekV4QNormRopeKVRopeQuantInsertKernelIN3c108BFloat16ELi32EEEvPKT_PS4_S6_PhPKlSA_PKffiiiii
    .private_segment_fixed_size: 0
    .sgpr_count:     32
    .sgpr_spill_count: 0
    .symbol:         _ZN4vllm21deepseek_v4_fused_ops47fusedDeepseekV4QNormRopeKVRopeQuantInsertKernelIN3c108BFloat16ELi32EEEvPKT_PS4_S6_PhPKlSA_PKffiiiii.kd
    .uniform_work_group_size: 1
    .uses_dynamic_stack: false
    .vgpr_count:     56
    .vgpr_spill_count: 0
    .wavefront_size: 64
  - .agpr_count:     0
    .args:
      - .actual_access:  read_only
        .address_space:  global
        .offset:         0
        .size:           8
        .value_kind:     global_buffer
      - .actual_access:  write_only
        .address_space:  global
        .offset:         8
        .size:           8
        .value_kind:     global_buffer
      - .actual_access:  read_only
        .address_space:  global
        .offset:         16
        .size:           8
        .value_kind:     global_buffer
      - .actual_access:  write_only
        .address_space:  global
        .offset:         24
        .size:           8
        .value_kind:     global_buffer
      - .actual_access:  read_only
        .address_space:  global
        .offset:         32
        .size:           8
        .value_kind:     global_buffer
      - .actual_access:  read_only
        .address_space:  global
        .offset:         40
        .size:           8
        .value_kind:     global_buffer
      - .actual_access:  read_only
        .address_space:  global
        .offset:         48
        .size:           8
        .value_kind:     global_buffer
      - .offset:         56
        .size:           4
        .value_kind:     by_value
      - .offset:         60
        .size:           4
        .value_kind:     by_value
      - .offset:         64
        .size:           4
        .value_kind:     by_value
      - .offset:         68
        .size:           4
        .value_kind:     by_value
      - .offset:         72
        .size:           4
        .value_kind:     by_value
      - .offset:         76
        .size:           4
        .value_kind:     by_value
      - .offset:         80
        .size:           4
        .value_kind:     hidden_block_count_x
      - .offset:         84
        .size:           4
        .value_kind:     hidden_block_count_y
      - .offset:         88
        .size:           4
        .value_kind:     hidden_block_count_z
      - .offset:         92
        .size:           2
        .value_kind:     hidden_group_size_x
      - .offset:         94
        .size:           2
        .value_kind:     hidden_group_size_y
      - .offset:         96
        .size:           2
        .value_kind:     hidden_group_size_z
      - .offset:         98
        .size:           2
        .value_kind:     hidden_remainder_x
      - .offset:         100
        .size:           2
        .value_kind:     hidden_remainder_y
      - .offset:         102
        .size:           2
        .value_kind:     hidden_remainder_z
      - .offset:         120
        .size:           8
        .value_kind:     hidden_global_offset_x
      - .offset:         128
        .size:           8
        .value_kind:     hidden_global_offset_y
      - .offset:         136
        .size:           8
        .value_kind:     hidden_global_offset_z
      - .offset:         144
        .size:           2
        .value_kind:     hidden_grid_dims
    .group_segment_fixed_size: 0
    .kernarg_segment_align: 8
    .kernarg_segment_size: 336
    .language:       OpenCL C
    .language_version:
      - 2
      - 0
    .max_flat_workgroup_size: 1024
    .name:           _ZN4vllm21deepseek_v4_fused_ops47fusedDeepseekV4QNormRopeKVRopeQuantInsertKernelIN3c108BFloat16ELi64EEEvPKT_PS4_S6_PhPKlSA_PKffiiiii
    .private_segment_fixed_size: 0
    .sgpr_count:     32
    .sgpr_spill_count: 0
    .symbol:         _ZN4vllm21deepseek_v4_fused_ops47fusedDeepseekV4QNormRopeKVRopeQuantInsertKernelIN3c108BFloat16ELi64EEEvPKT_PS4_S6_PhPKlSA_PKffiiiii.kd
    .uniform_work_group_size: 1
    .uses_dynamic_stack: false
    .vgpr_count:     56
    .vgpr_spill_count: 0
    .wavefront_size: 64
  - .agpr_count:     0
    .args:
      - .actual_access:  read_only
        .address_space:  global
        .offset:         0
        .size:           8
        .value_kind:     global_buffer
      - .actual_access:  write_only
        .address_space:  global
        .offset:         8
        .size:           8
        .value_kind:     global_buffer
      - .actual_access:  read_only
        .address_space:  global
        .offset:         16
        .size:           8
        .value_kind:     global_buffer
      - .actual_access:  write_only
        .address_space:  global
        .offset:         24
        .size:           8
        .value_kind:     global_buffer
      - .actual_access:  read_only
        .address_space:  global
        .offset:         32
        .size:           8
        .value_kind:     global_buffer
      - .actual_access:  read_only
        .address_space:  global
        .offset:         40
        .size:           8
        .value_kind:     global_buffer
      - .actual_access:  read_only
        .address_space:  global
        .offset:         48
        .size:           8
        .value_kind:     global_buffer
      - .offset:         56
        .size:           4
        .value_kind:     by_value
      - .offset:         60
        .size:           4
        .value_kind:     by_value
      - .offset:         64
        .size:           4
        .value_kind:     by_value
      - .offset:         68
        .size:           4
        .value_kind:     by_value
      - .offset:         72
        .size:           4
        .value_kind:     by_value
      - .offset:         76
        .size:           4
        .value_kind:     by_value
      - .offset:         80
        .size:           4
        .value_kind:     hidden_block_count_x
      - .offset:         84
        .size:           4
        .value_kind:     hidden_block_count_y
      - .offset:         88
        .size:           4
        .value_kind:     hidden_block_count_z
      - .offset:         92
        .size:           2
        .value_kind:     hidden_group_size_x
      - .offset:         94
        .size:           2
        .value_kind:     hidden_group_size_y
      - .offset:         96
        .size:           2
        .value_kind:     hidden_group_size_z
      - .offset:         98
        .size:           2
        .value_kind:     hidden_remainder_x
      - .offset:         100
        .size:           2
        .value_kind:     hidden_remainder_y
      - .offset:         102
        .size:           2
        .value_kind:     hidden_remainder_z
      - .offset:         120
        .size:           8
        .value_kind:     hidden_global_offset_x
      - .offset:         128
        .size:           8
        .value_kind:     hidden_global_offset_y
      - .offset:         136
        .size:           8
        .value_kind:     hidden_global_offset_z
      - .offset:         144
        .size:           2
        .value_kind:     hidden_grid_dims
    .group_segment_fixed_size: 0
    .kernarg_segment_align: 8
    .kernarg_segment_size: 336
    .language:       OpenCL C
    .language_version:
      - 2
      - 0
    .max_flat_workgroup_size: 1024
    .name:           _ZN4vllm21deepseek_v4_fused_ops47fusedDeepseekV4QNormRopeKVRopeQuantInsertKernelIN3c108BFloat16ELi128EEEvPKT_PS4_S6_PhPKlSA_PKffiiiii
    .private_segment_fixed_size: 0
    .sgpr_count:     32
    .sgpr_spill_count: 0
    .symbol:         _ZN4vllm21deepseek_v4_fused_ops47fusedDeepseekV4QNormRopeKVRopeQuantInsertKernelIN3c108BFloat16ELi128EEEvPKT_PS4_S6_PhPKlSA_PKffiiiii.kd
    .uniform_work_group_size: 1
    .uses_dynamic_stack: false
    .vgpr_count:     56
    .vgpr_spill_count: 0
    .wavefront_size: 64
  - .agpr_count:     0
    .args:
      - .address_space:  global
        .offset:         0
        .size:           8
        .value_kind:     global_buffer
      - .actual_access:  read_only
        .address_space:  global
        .offset:         8
        .size:           8
        .value_kind:     global_buffer
      - .offset:         16
        .size:           8
        .value_kind:     by_value
      - .offset:         24
        .size:           8
        .value_kind:     by_value
      - .actual_access:  read_only
        .address_space:  global
        .offset:         32
        .size:           8
        .value_kind:     global_buffer
      - .actual_access:  write_only
        .address_space:  global
        .offset:         40
        .size:           8
        .value_kind:     global_buffer
      - .actual_access:  read_only
        .address_space:  global
        .offset:         48
        .size:           8
        .value_kind:     global_buffer
      - .actual_access:  read_only
        .address_space:  global
        .offset:         56
        .size:           8
        .value_kind:     global_buffer
      - .actual_access:  read_only
        .address_space:  global
        .offset:         64
        .size:           8
        .value_kind:     global_buffer
      - .actual_access:  read_only
        .address_space:  global
        .offset:         72
        .size:           8
        .value_kind:     global_buffer
      - .actual_access:  read_only
        .address_space:  global
        .offset:         80
        .size:           8
        .value_kind:     global_buffer
      - .offset:         88
        .size:           4
        .value_kind:     by_value
      - .offset:         92
        .size:           4
        .value_kind:     by_value
      - .offset:         96
        .size:           4
        .value_kind:     by_value
      - .offset:         100
        .size:           4
        .value_kind:     by_value
      - .offset:         104
        .size:           4
        .value_kind:     by_value
      - .offset:         112
        .size:           8
        .value_kind:     by_value
      - .offset:         120
        .size:           8
        .value_kind:     by_value
      - .offset:         128
        .size:           4
        .value_kind:     hidden_block_count_x
      - .offset:         132
        .size:           4
        .value_kind:     hidden_block_count_y
      - .offset:         136
        .size:           4
        .value_kind:     hidden_block_count_z
      - .offset:         140
        .size:           2
        .value_kind:     hidden_group_size_x
      - .offset:         142
        .size:           2
        .value_kind:     hidden_group_size_y
      - .offset:         144
        .size:           2
        .value_kind:     hidden_group_size_z
      - .offset:         146
        .size:           2
        .value_kind:     hidden_remainder_x
      - .offset:         148
        .size:           2
        .value_kind:     hidden_remainder_y
      - .offset:         150
        .size:           2
        .value_kind:     hidden_remainder_z
      - .offset:         168
        .size:           8
        .value_kind:     hidden_global_offset_x
      - .offset:         176
        .size:           8
        .value_kind:     hidden_global_offset_y
      - .offset:         184
        .size:           8
        .value_kind:     hidden_global_offset_z
      - .offset:         192
        .size:           2
        .value_kind:     hidden_grid_dims
    .group_segment_fixed_size: 0
    .kernarg_segment_align: 8
    .kernarg_segment_size: 384
    .language:       OpenCL C
    .language_version:
      - 2
      - 0
    .max_flat_workgroup_size: 1024
    .name:           _ZN4vllm21deepseek_v4_fused_ops30fusedDeepseekV4FullCacheKernelIN3c104HalfELb0ELb0EEEvPT_PhllPKS4_S6_PKlSA_PKfSC_SC_fiiiill
    .private_segment_fixed_size: 0
    .sgpr_count:     25
    .sgpr_spill_count: 0
    .symbol:         _ZN4vllm21deepseek_v4_fused_ops30fusedDeepseekV4FullCacheKernelIN3c104HalfELb0ELb0EEEvPT_PhllPKS4_S6_PKlSA_PKfSC_SC_fiiiill.kd
    .uniform_work_group_size: 1
    .uses_dynamic_stack: false
    .vgpr_count:     56
    .vgpr_spill_count: 0
    .wavefront_size: 64
  - .agpr_count:     0
    .args:
      - .address_space:  global
        .offset:         0
        .size:           8
        .value_kind:     global_buffer
      - .actual_access:  read_only
        .address_space:  global
        .offset:         8
        .size:           8
        .value_kind:     global_buffer
      - .offset:         16
        .size:           8
        .value_kind:     by_value
      - .offset:         24
        .size:           8
        .value_kind:     by_value
      - .actual_access:  read_only
        .address_space:  global
        .offset:         32
        .size:           8
        .value_kind:     global_buffer
      - .actual_access:  write_only
        .address_space:  global
        .offset:         40
        .size:           8
        .value_kind:     global_buffer
      - .actual_access:  read_only
        .address_space:  global
        .offset:         48
        .size:           8
        .value_kind:     global_buffer
      - .actual_access:  read_only
        .address_space:  global
        .offset:         56
        .size:           8
        .value_kind:     global_buffer
      - .actual_access:  read_only
        .address_space:  global
        .offset:         64
        .size:           8
        .value_kind:     global_buffer
      - .actual_access:  read_only
        .address_space:  global
        .offset:         72
        .size:           8
        .value_kind:     global_buffer
      - .actual_access:  read_only
        .address_space:  global
        .offset:         80
        .size:           8
        .value_kind:     global_buffer
      - .offset:         88
        .size:           4
        .value_kind:     by_value
      - .offset:         92
        .size:           4
        .value_kind:     by_value
      - .offset:         96
        .size:           4
        .value_kind:     by_value
      - .offset:         100
        .size:           4
        .value_kind:     by_value
      - .offset:         104
        .size:           4
        .value_kind:     by_value
      - .offset:         112
        .size:           8
        .value_kind:     by_value
      - .offset:         120
        .size:           8
        .value_kind:     by_value
      - .offset:         128
        .size:           4
        .value_kind:     hidden_block_count_x
      - .offset:         132
        .size:           4
        .value_kind:     hidden_block_count_y
      - .offset:         136
        .size:           4
        .value_kind:     hidden_block_count_z
      - .offset:         140
        .size:           2
        .value_kind:     hidden_group_size_x
      - .offset:         142
        .size:           2
        .value_kind:     hidden_group_size_y
      - .offset:         144
        .size:           2
        .value_kind:     hidden_group_size_z
      - .offset:         146
        .size:           2
        .value_kind:     hidden_remainder_x
      - .offset:         148
        .size:           2
        .value_kind:     hidden_remainder_y
      - .offset:         150
        .size:           2
        .value_kind:     hidden_remainder_z
      - .offset:         168
        .size:           8
        .value_kind:     hidden_global_offset_x
      - .offset:         176
        .size:           8
        .value_kind:     hidden_global_offset_y
      - .offset:         184
        .size:           8
        .value_kind:     hidden_global_offset_z
      - .offset:         192
        .size:           2
        .value_kind:     hidden_grid_dims
    .group_segment_fixed_size: 0
    .kernarg_segment_align: 8
    .kernarg_segment_size: 384
    .language:       OpenCL C
    .language_version:
      - 2
      - 0
    .max_flat_workgroup_size: 1024
    .name:           _ZN4vllm21deepseek_v4_fused_ops30fusedDeepseekV4FullCacheKernelIN3c108BFloat16ELb0ELb0EEEvPT_PhllPKS4_S6_PKlSA_PKfSC_SC_fiiiill
    .private_segment_fixed_size: 0
    .sgpr_count:     28
    .sgpr_spill_count: 0
    .symbol:         _ZN4vllm21deepseek_v4_fused_ops30fusedDeepseekV4FullCacheKernelIN3c108BFloat16ELb0ELb0EEEvPT_PhllPKS4_S6_PKlSA_PKfSC_SC_fiiiill.kd
    .uniform_work_group_size: 1
    .uses_dynamic_stack: false
    .vgpr_count:     58
    .vgpr_spill_count: 0
    .wavefront_size: 64
  - .agpr_count:     0
    .args:
      - .actual_access:  read_only
        .address_space:  global
        .offset:         0
        .size:           8
        .value_kind:     global_buffer
      - .actual_access:  write_only
        .address_space:  global
        .offset:         8
        .size:           8
        .value_kind:     global_buffer
      - .offset:         16
        .size:           8
        .value_kind:     by_value
      - .offset:         24
        .size:           8
        .value_kind:     by_value
      - .actual_access:  read_only
        .address_space:  global
        .offset:         32
        .size:           8
        .value_kind:     global_buffer
      - .actual_access:  write_only
        .address_space:  global
        .offset:         40
        .size:           8
        .value_kind:     global_buffer
      - .actual_access:  read_only
        .address_space:  global
        .offset:         48
        .size:           8
        .value_kind:     global_buffer
      - .actual_access:  read_only
        .address_space:  global
        .offset:         56
        .size:           8
        .value_kind:     global_buffer
      - .actual_access:  read_only
        .address_space:  global
        .offset:         64
        .size:           8
        .value_kind:     global_buffer
      - .actual_access:  read_only
        .address_space:  global
        .offset:         72
        .size:           8
        .value_kind:     global_buffer
      - .actual_access:  read_only
        .address_space:  global
        .offset:         80
        .size:           8
        .value_kind:     global_buffer
      - .offset:         88
        .size:           4
        .value_kind:     by_value
      - .offset:         92
        .size:           4
        .value_kind:     by_value
      - .offset:         96
        .size:           4
        .value_kind:     by_value
      - .offset:         100
        .size:           4
        .value_kind:     by_value
      - .offset:         104
        .size:           4
        .value_kind:     by_value
      - .offset:         112
        .size:           8
        .value_kind:     by_value
      - .offset:         120
        .size:           8
        .value_kind:     by_value
      - .offset:         128
        .size:           4
        .value_kind:     hidden_block_count_x
      - .offset:         132
        .size:           4
        .value_kind:     hidden_block_count_y
      - .offset:         136
        .size:           4
        .value_kind:     hidden_block_count_z
      - .offset:         140
        .size:           2
        .value_kind:     hidden_group_size_x
      - .offset:         142
        .size:           2
        .value_kind:     hidden_group_size_y
      - .offset:         144
        .size:           2
        .value_kind:     hidden_group_size_z
      - .offset:         146
        .size:           2
        .value_kind:     hidden_remainder_x
      - .offset:         148
        .size:           2
        .value_kind:     hidden_remainder_y
      - .offset:         150
        .size:           2
        .value_kind:     hidden_remainder_z
      - .offset:         168
        .size:           8
        .value_kind:     hidden_global_offset_x
      - .offset:         176
        .size:           8
        .value_kind:     hidden_global_offset_y
      - .offset:         184
        .size:           8
        .value_kind:     hidden_global_offset_z
      - .offset:         192
        .size:           2
        .value_kind:     hidden_grid_dims
    .group_segment_fixed_size: 0
    .kernarg_segment_align: 8
    .kernarg_segment_size: 384
    .language:       OpenCL C
    .language_version:
      - 2
      - 0
    .max_flat_workgroup_size: 1024
    .name:           _ZN4vllm21deepseek_v4_fused_ops30fusedDeepseekV4FullCacheKernelIN3c104HalfELb1ELb1EEEvPT_PhllPKS4_S6_PKlSA_PKfSC_SC_fiiiill
    .private_segment_fixed_size: 0
    .sgpr_count:     24
    .sgpr_spill_count: 0
    .symbol:         _ZN4vllm21deepseek_v4_fused_ops30fusedDeepseekV4FullCacheKernelIN3c104HalfELb1ELb1EEEvPT_PhllPKS4_S6_PKlSA_PKfSC_SC_fiiiill.kd
    .uniform_work_group_size: 1
    .uses_dynamic_stack: false
    .vgpr_count:     56
    .vgpr_spill_count: 0
    .wavefront_size: 64
  - .agpr_count:     0
    .args:
      - .actual_access:  read_only
        .address_space:  global
        .offset:         0
        .size:           8
        .value_kind:     global_buffer
      - .actual_access:  write_only
        .address_space:  global
        .offset:         8
        .size:           8
        .value_kind:     global_buffer
      - .offset:         16
        .size:           8
        .value_kind:     by_value
      - .offset:         24
        .size:           8
        .value_kind:     by_value
      - .actual_access:  read_only
        .address_space:  global
        .offset:         32
        .size:           8
        .value_kind:     global_buffer
      - .actual_access:  write_only
        .address_space:  global
        .offset:         40
        .size:           8
        .value_kind:     global_buffer
      - .actual_access:  read_only
        .address_space:  global
        .offset:         48
        .size:           8
        .value_kind:     global_buffer
      - .actual_access:  read_only
        .address_space:  global
        .offset:         56
        .size:           8
        .value_kind:     global_buffer
      - .actual_access:  read_only
        .address_space:  global
        .offset:         64
        .size:           8
        .value_kind:     global_buffer
      - .actual_access:  read_only
        .address_space:  global
        .offset:         72
        .size:           8
        .value_kind:     global_buffer
      - .actual_access:  read_only
        .address_space:  global
        .offset:         80
        .size:           8
        .value_kind:     global_buffer
      - .offset:         88
        .size:           4
        .value_kind:     by_value
      - .offset:         92
        .size:           4
        .value_kind:     by_value
      - .offset:         96
        .size:           4
        .value_kind:     by_value
      - .offset:         100
        .size:           4
        .value_kind:     by_value
      - .offset:         104
        .size:           4
        .value_kind:     by_value
      - .offset:         112
        .size:           8
        .value_kind:     by_value
      - .offset:         120
        .size:           8
        .value_kind:     by_value
      - .offset:         128
        .size:           4
        .value_kind:     hidden_block_count_x
      - .offset:         132
        .size:           4
        .value_kind:     hidden_block_count_y
      - .offset:         136
        .size:           4
        .value_kind:     hidden_block_count_z
      - .offset:         140
        .size:           2
        .value_kind:     hidden_group_size_x
      - .offset:         142
        .size:           2
        .value_kind:     hidden_group_size_y
      - .offset:         144
        .size:           2
        .value_kind:     hidden_group_size_z
      - .offset:         146
        .size:           2
        .value_kind:     hidden_remainder_x
      - .offset:         148
        .size:           2
        .value_kind:     hidden_remainder_y
      - .offset:         150
        .size:           2
        .value_kind:     hidden_remainder_z
      - .offset:         168
        .size:           8
        .value_kind:     hidden_global_offset_x
      - .offset:         176
        .size:           8
        .value_kind:     hidden_global_offset_y
      - .offset:         184
        .size:           8
        .value_kind:     hidden_global_offset_z
      - .offset:         192
        .size:           2
        .value_kind:     hidden_grid_dims
    .group_segment_fixed_size: 0
    .kernarg_segment_align: 8
    .kernarg_segment_size: 384
    .language:       OpenCL C
    .language_version:
      - 2
      - 0
    .max_flat_workgroup_size: 1024
    .name:           _ZN4vllm21deepseek_v4_fused_ops30fusedDeepseekV4FullCacheKernelIN3c108BFloat16ELb1ELb1EEEvPT_PhllPKS4_S6_PKlSA_PKfSC_SC_fiiiill
    .private_segment_fixed_size: 0
    .sgpr_count:     24
    .sgpr_spill_count: 0
    .symbol:         _ZN4vllm21deepseek_v4_fused_ops30fusedDeepseekV4FullCacheKernelIN3c108BFloat16ELb1ELb1EEEvPT_PhllPKS4_S6_PKlSA_PKfSC_SC_fiiiill.kd
    .uniform_work_group_size: 1
    .uses_dynamic_stack: false
    .vgpr_count:     56
    .vgpr_spill_count: 0
    .wavefront_size: 64
amdhsa.target:   amdgcn-amd-amdhsa--gfx90a
amdhsa.version:
  - 1
  - 2
...

	.end_amdgpu_metadata
